;; amdgpu-corpus repo=ROCm/rocFFT kind=compiled arch=gfx1201 opt=O3
	.text
	.amdgcn_target "amdgcn-amd-amdhsa--gfx1201"
	.amdhsa_code_object_version 6
	.protected	bluestein_single_back_len1890_dim1_dp_op_CI_CI ; -- Begin function bluestein_single_back_len1890_dim1_dp_op_CI_CI
	.globl	bluestein_single_back_len1890_dim1_dp_op_CI_CI
	.p2align	8
	.type	bluestein_single_back_len1890_dim1_dp_op_CI_CI,@function
bluestein_single_back_len1890_dim1_dp_op_CI_CI: ; @bluestein_single_back_len1890_dim1_dp_op_CI_CI
; %bb.0:
	s_load_b128 s[8:11], s[0:1], 0x28
	v_mul_u32_u24_e32 v1, 0x209, v0
	s_mov_b32 s2, exec_lo
	v_mov_b32_e32 v6, 0
	s_delay_alu instid0(VALU_DEP_2) | instskip(NEXT) | instid1(VALU_DEP_1)
	v_lshrrev_b32_e32 v1, 16, v1
	v_add_nc_u32_e32 v5, ttmp9, v1
	s_wait_kmcnt 0x0
	s_delay_alu instid0(VALU_DEP_1)
	v_cmpx_gt_u64_e64 s[8:9], v[5:6]
	s_cbranch_execz .LBB0_23
; %bb.1:
	s_clause 0x1
	s_load_b128 s[4:7], s[0:1], 0x18
	s_load_b64 s[16:17], s[0:1], 0x0
	v_mul_lo_u16 v1, 0x7e, v1
	v_mov_b32_e32 v6, v5
	s_movk_i32 s2, 0xfccd
	s_mov_b32 s3, -1
	s_delay_alu instid0(VALU_DEP_2)
	v_sub_nc_u16 v2, v0, v1
	scratch_store_b64 off, v[6:7], off offset:268 ; 8-byte Folded Spill
	s_wait_kmcnt 0x0
	s_load_b128 s[12:15], s[4:5], 0x0
	s_wait_kmcnt 0x0
	v_mad_co_u64_u32 v[0:1], null, s14, v5, 0
	s_mul_u64 s[4:5], s[12:13], 0x3b1
	s_mul_u64 s[2:3], s[12:13], s[2:3]
	s_delay_alu instid0(SALU_CYCLE_1) | instskip(NEXT) | instid1(VALU_DEP_1)
	s_lshl_b64 s[2:3], s[2:3], 4
	v_mad_co_u64_u32 v[5:6], null, s15, v5, v[1:2]
	s_delay_alu instid0(VALU_DEP_1) | instskip(NEXT) | instid1(VALU_DEP_1)
	v_dual_mov_b32 v1, v5 :: v_dual_and_b32 v164, 0xffff, v2
	v_mad_co_u64_u32 v[3:4], null, s12, v164, 0
	v_lshlrev_b32_e32 v128, 4, v164
	s_delay_alu instid0(VALU_DEP_3)
	v_lshlrev_b64_e32 v[0:1], 4, v[0:1]
	global_load_b128 v[115:118], v128, s[16:17] offset:15120
	v_mad_co_u64_u32 v[6:7], null, s13, v164, v[4:5]
	v_add_co_u32 v0, vcc_lo, s10, v0
	v_add_co_ci_u32_e32 v1, vcc_lo, s11, v1, vcc_lo
	s_lshl_b64 s[10:11], s[4:5], 4
	s_clause 0x1
	global_load_b128 v[119:122], v128, s[16:17]
	global_load_b128 v[123:126], v128, s[16:17] offset:2016
	v_mov_b32_e32 v4, v6
	s_clause 0x8
	global_load_b128 v[129:132], v128, s[16:17] offset:17136
	global_load_b128 v[133:136], v128, s[16:17] offset:19152
	;; [unrolled: 1-line block ×9, first 2 shown]
	v_lshlrev_b64_e32 v[3:4], 4, v[3:4]
	s_delay_alu instid0(VALU_DEP_1) | instskip(SKIP_1) | instid1(VALU_DEP_2)
	v_add_co_u32 v0, vcc_lo, v0, v3
	s_wait_alu 0xfffd
	v_add_co_ci_u32_e32 v1, vcc_lo, v1, v4, vcc_lo
	s_wait_alu 0xfffe
	s_delay_alu instid0(VALU_DEP_2) | instskip(SKIP_1) | instid1(VALU_DEP_2)
	v_add_co_u32 v7, vcc_lo, v0, s10
	s_wait_alu 0xfffd
	v_add_co_ci_u32_e32 v8, vcc_lo, s11, v1, vcc_lo
	s_delay_alu instid0(VALU_DEP_2) | instskip(SKIP_1) | instid1(VALU_DEP_2)
	v_add_co_u32 v11, vcc_lo, v7, s2
	s_wait_alu 0xfffd
	v_add_co_ci_u32_e32 v12, vcc_lo, s3, v8, vcc_lo
	s_clause 0x1
	global_load_b128 v[3:6], v[0:1], off
	global_load_b128 v[7:10], v[7:8], off
	v_add_co_u32 v15, vcc_lo, v11, s10
	s_wait_alu 0xfffd
	v_add_co_ci_u32_e32 v16, vcc_lo, s11, v12, vcc_lo
	s_delay_alu instid0(VALU_DEP_2) | instskip(SKIP_1) | instid1(VALU_DEP_2)
	v_add_co_u32 v19, vcc_lo, v15, s2
	s_wait_alu 0xfffd
	v_add_co_ci_u32_e32 v20, vcc_lo, s3, v16, vcc_lo
	s_clause 0x1
	global_load_b128 v[11:14], v[11:12], off
	global_load_b128 v[15:18], v[15:16], off
	v_add_co_u32 v0, vcc_lo, v19, s10
	s_wait_alu 0xfffd
	v_add_co_ci_u32_e32 v1, vcc_lo, s11, v20, vcc_lo
	global_load_b128 v[19:22], v[19:20], off
	v_add_co_u32 v27, vcc_lo, v0, s2
	s_wait_alu 0xfffd
	v_add_co_ci_u32_e32 v28, vcc_lo, s3, v1, vcc_lo
	;; [unrolled: 4-line block ×8, first 2 shown]
	s_delay_alu instid0(VALU_DEP_2) | instskip(SKIP_1) | instid1(VALU_DEP_2)
	v_add_co_u32 v0, vcc_lo, v51, s10
	s_wait_alu 0xfffd
	v_add_co_ci_u32_e32 v1, vcc_lo, s11, v52, vcc_lo
	global_load_b128 v[47:50], v[47:48], off
	global_load_b128 v[169:172], v128, s[16:17] offset:12096
	global_load_b128 v[51:54], v[51:52], off
	global_load_b128 v[173:176], v128, s[16:17] offset:27216
	global_load_b128 v[55:58], v[0:1], off
	v_cmp_gt_u16_e32 vcc_lo, 63, v2
	s_wait_loadcnt 0x1b
	scratch_store_b128 off, v[115:118], off offset:88 ; 16-byte Folded Spill
	s_wait_loadcnt 0x1a
	scratch_store_b128 off, v[119:122], off offset:104 ; 16-byte Folded Spill
	s_wait_loadcnt 0x19
	scratch_store_b128 off, v[123:126], off offset:120 ; 16-byte Folded Spill
	s_wait_loadcnt 0x18
	scratch_store_b128 off, v[129:132], off offset:136 ; 16-byte Folded Spill
	s_wait_loadcnt 0x16
	s_clause 0x1
	scratch_store_b128 off, v[137:140], off offset:168
	scratch_store_b128 off, v[133:136], off offset:152
	s_wait_loadcnt 0x15
	scratch_store_b128 off, v[141:144], off offset:184 ; 16-byte Folded Spill
	s_wait_loadcnt 0x14
	scratch_store_b128 off, v[145:148], off offset:200 ; 16-byte Folded Spill
	s_wait_loadcnt 0x12
	s_clause 0x1
	scratch_store_b128 off, v[153:156], off offset:232
	scratch_store_b128 off, v[149:152], off offset:216
	s_wait_loadcnt 0x11
	scratch_store_b128 off, v[157:160], off offset:252 ; 16-byte Folded Spill
	s_wait_loadcnt 0x10
	scratch_store_b128 off, v[165:168], off offset:276 ; 16-byte Folded Spill
	s_wait_loadcnt 0xf
	v_mul_f64_e32 v[59:60], v[5:6], v[121:122]
	v_mul_f64_e32 v[61:62], v[3:4], v[121:122]
	s_wait_loadcnt 0xe
	v_mul_f64_e32 v[63:64], v[9:10], v[117:118]
	v_mul_f64_e32 v[65:66], v[7:8], v[117:118]
	;; [unrolled: 3-line block ×9, first 2 shown]
	v_fma_f64 v[3:4], v[3:4], v[119:120], v[59:60]
	v_fma_f64 v[5:6], v[5:6], v[119:120], -v[61:62]
	v_fma_f64 v[7:8], v[7:8], v[115:116], v[63:64]
	s_wait_loadcnt 0x6
	v_mul_f64_e32 v[95:96], v[41:42], v[151:152]
	v_mul_f64_e32 v[97:98], v[39:40], v[151:152]
	v_fma_f64 v[9:10], v[9:10], v[115:116], -v[65:66]
	v_add_co_u32 v59, s12, s16, v128
	s_wait_loadcnt 0x5
	v_mul_f64_e32 v[99:100], v[45:46], v[159:160]
	v_mul_f64_e32 v[101:102], v[43:44], v[159:160]
	v_fma_f64 v[11:12], v[11:12], v[123:124], v[67:68]
	v_fma_f64 v[13:14], v[13:14], v[123:124], -v[69:70]
	v_fma_f64 v[15:16], v[15:16], v[129:130], v[71:72]
	v_fma_f64 v[17:18], v[17:18], v[129:130], -v[73:74]
	s_wait_loadcnt 0x4
	v_mul_f64_e32 v[103:104], v[49:50], v[167:168]
	v_mul_f64_e32 v[105:106], v[47:48], v[167:168]
	s_wait_loadcnt 0x2
	v_mul_f64_e32 v[107:108], v[53:54], v[171:172]
	v_mul_f64_e32 v[109:110], v[51:52], v[171:172]
	;; [unrolled: 3-line block ×3, first 2 shown]
	v_fma_f64 v[19:20], v[19:20], v[137:138], v[75:76]
	v_fma_f64 v[23:24], v[23:24], v[133:134], v[79:80]
	v_fma_f64 v[25:26], v[25:26], v[133:134], -v[81:82]
	v_fma_f64 v[21:22], v[21:22], v[137:138], -v[77:78]
	s_clause 0x1
	scratch_store_b128 off, v[169:172], off offset:292
	scratch_store_b128 off, v[173:176], off offset:308
	v_fma_f64 v[27:28], v[27:28], v[141:142], v[83:84]
	v_fma_f64 v[29:30], v[29:30], v[141:142], -v[85:86]
	s_load_b64 s[8:9], s[0:1], 0x38
	s_load_b128 s[4:7], s[6:7], 0x0
	v_add_co_ci_u32_e64 v60, null, s17, 0, s12
	v_fma_f64 v[31:32], v[31:32], v[145:146], v[87:88]
	v_fma_f64 v[33:34], v[33:34], v[145:146], -v[89:90]
	scratch_store_b64 off, v[59:60], off    ; 8-byte Folded Spill
	v_fma_f64 v[35:36], v[35:36], v[153:154], v[91:92]
	v_fma_f64 v[37:38], v[37:38], v[153:154], -v[93:94]
	v_fma_f64 v[39:40], v[39:40], v[149:150], v[95:96]
	v_fma_f64 v[41:42], v[41:42], v[149:150], -v[97:98]
	;; [unrolled: 2-line block ×3, first 2 shown]
	ds_store_b128 v128, v[3:6]
	ds_store_b128 v128, v[11:14] offset:2016
	ds_store_b128 v128, v[15:18] offset:17136
	;; [unrolled: 1-line block ×9, first 2 shown]
	v_fma_f64 v[51:52], v[51:52], v[169:170], v[107:108]
	v_fma_f64 v[53:54], v[53:54], v[169:170], -v[109:110]
	v_fma_f64 v[47:48], v[47:48], v[165:166], v[103:104]
	v_fma_f64 v[49:50], v[49:50], v[165:166], -v[105:106]
	;; [unrolled: 2-line block ×3, first 2 shown]
	ds_store_b128 v128, v[7:10] offset:15120
	ds_store_b128 v128, v[51:54] offset:12096
	;; [unrolled: 1-line block ×4, first 2 shown]
	s_and_saveexec_b32 s12, vcc_lo
	s_cbranch_execz .LBB0_3
; %bb.2:
	v_add_co_u32 v0, s2, v0, s2
	s_wait_alu 0xf1ff
	v_add_co_ci_u32_e64 v1, s2, s3, v1, s2
	s_delay_alu instid0(VALU_DEP_2) | instskip(SKIP_1) | instid1(VALU_DEP_2)
	v_add_co_u32 v12, s2, v0, s10
	s_wait_alu 0xf1ff
	v_add_co_ci_u32_e64 v13, s2, s11, v1, s2
	global_load_b128 v[0:3], v[0:1], off
	scratch_load_b64 v[8:9], off, off       ; 8-byte Folded Reload
	s_wait_loadcnt 0x0
	s_clause 0x1
	global_load_b128 v[4:7], v[8:9], off offset:14112
	global_load_b128 v[8:11], v[8:9], off offset:29232
	global_load_b128 v[12:15], v[12:13], off
	s_wait_loadcnt 0x2
	v_mul_f64_e32 v[16:17], v[2:3], v[6:7]
	v_mul_f64_e32 v[6:7], v[0:1], v[6:7]
	s_wait_loadcnt 0x0
	v_mul_f64_e32 v[18:19], v[14:15], v[10:11]
	v_mul_f64_e32 v[10:11], v[12:13], v[10:11]
	s_delay_alu instid0(VALU_DEP_4) | instskip(NEXT) | instid1(VALU_DEP_4)
	v_fma_f64 v[0:1], v[0:1], v[4:5], v[16:17]
	v_fma_f64 v[2:3], v[2:3], v[4:5], -v[6:7]
	s_delay_alu instid0(VALU_DEP_4) | instskip(NEXT) | instid1(VALU_DEP_4)
	v_fma_f64 v[4:5], v[12:13], v[8:9], v[18:19]
	v_fma_f64 v[6:7], v[14:15], v[8:9], -v[10:11]
	ds_store_b128 v128, v[0:3] offset:14112
	ds_store_b128 v128, v[4:7] offset:29232
.LBB0_3:
	s_wait_alu 0xfffe
	s_or_b32 exec_lo, exec_lo, s12
	global_wb scope:SCOPE_SE
	s_wait_storecnt_dscnt 0x0
	s_wait_kmcnt 0x0
	s_barrier_signal -1
	s_barrier_wait -1
	global_inv scope:SCOPE_SE
	ds_load_b128 v[8:11], v128
	ds_load_b128 v[12:15], v128 offset:2016
	ds_load_b128 v[56:59], v128 offset:17136
	;; [unrolled: 1-line block ×13, first 2 shown]
	s_load_b64 s[2:3], s[0:1], 0x8
                                        ; implicit-def: $vgpr4_vgpr5
                                        ; implicit-def: $vgpr32_vgpr33
	s_and_saveexec_b32 s0, vcc_lo
	s_cbranch_execz .LBB0_5
; %bb.4:
	ds_load_b128 v[4:7], v128 offset:14112
	ds_load_b128 v[32:35], v128 offset:29232
.LBB0_5:
	s_wait_alu 0xfffe
	s_or_b32 exec_lo, exec_lo, s0
	s_wait_dscnt 0x3
	v_add_f64_e64 v[60:61], v[8:9], -v[60:61]
	v_add_f64_e64 v[62:63], v[10:11], -v[62:63]
	s_wait_dscnt 0x0
	v_add_f64_e64 v[36:37], v[0:1], -v[36:37]
	v_add_f64_e64 v[38:39], v[2:3], -v[38:39]
	;; [unrolled: 1-line block ×12, first 2 shown]
	v_add_co_u32 v130, s0, 0x7e, v164
	s_wait_alu 0xf1ff
	v_add_co_ci_u32_e64 v64, null, 0, 0, s0
	v_add_co_u32 v131, null, 0xfc, v164
	v_lshlrev_b32_e32 v72, 5, v164
	global_wb scope:SCOPE_SE
	s_wait_kmcnt 0x0
	s_barrier_signal -1
	s_barrier_wait -1
	global_inv scope:SCOPE_SE
	v_fma_f64 v[8:9], v[8:9], 2.0, -v[60:61]
	v_fma_f64 v[10:11], v[10:11], 2.0, -v[62:63]
	;; [unrolled: 1-line block ×4, first 2 shown]
	v_add_f64_e64 v[0:1], v[4:5], -v[32:33]
	v_add_f64_e64 v[2:3], v[6:7], -v[34:35]
	v_fma_f64 v[12:13], v[12:13], 2.0, -v[56:57]
	v_fma_f64 v[14:15], v[14:15], 2.0, -v[58:59]
	;; [unrolled: 1-line block ×10, first 2 shown]
	v_add_co_u32 v21, s0, 0x17a, v164
	s_wait_alu 0xf1ff
	v_add_co_ci_u32_e64 v20, null, 0, 0, s0
	v_add_co_u32 v20, s0, 0x1f8, v164
	s_wait_alu 0xf1ff
	v_add_co_ci_u32_e64 v26, null, 0, 0, s0
	v_lshlrev_b16 v26, 1, v164
	v_add_co_u32 v27, null, 0x372, v164
	v_lshlrev_b32_e32 v32, 5, v130
	v_lshlrev_b32_e32 v33, 5, v131
	s_delay_alu instid0(VALU_DEP_4) | instskip(SKIP_3) | instid1(VALU_DEP_4)
	v_and_b32_e32 v26, 0xffff, v26
	v_lshlrev_b32_e32 v34, 5, v21
	v_lshlrev_b32_e32 v35, 5, v20
	;; [unrolled: 1-line block ×4, first 2 shown]
	s_clause 0x1
	scratch_store_b32 off, v27, off offset:340
	scratch_store_b32 off, v26, off offset:328
	ds_store_b128 v26, v[8:11]
	ds_store_b128 v26, v[60:63] offset:16
	ds_store_b128 v32, v[12:15]
	scratch_store_b32 off, v32, off offset:324 ; 4-byte Folded Spill
	ds_store_b128 v32, v[56:59] offset:16
	ds_store_b128 v33, v[64:67]
	scratch_store_b32 off, v33, off offset:332 ; 4-byte Folded Spill
	;; [unrolled: 3-line block ×4, first 2 shown]
	ds_store_b128 v35, v[44:47] offset:16
	ds_store_b128 v72, v[22:25] offset:20160
	;; [unrolled: 1-line block ×4, first 2 shown]
	scratch_store_b32 off, v72, off offset:412 ; 4-byte Folded Spill
	ds_store_b128 v72, v[36:39] offset:24208
	s_and_saveexec_b32 s0, vcc_lo
	s_cbranch_execz .LBB0_7
; %bb.6:
	scratch_load_b32 v8, off, off offset:340 ; 4-byte Folded Reload
	v_fma_f64 v[6:7], v[6:7], 2.0, -v[2:3]
	v_fma_f64 v[4:5], v[4:5], 2.0, -v[0:1]
	s_wait_loadcnt 0x0
	ds_store_b128 v8, v[4:7]
	ds_store_b128 v8, v[0:3] offset:16
.LBB0_7:
	s_wait_alu 0xfffe
	s_or_b32 exec_lo, exec_lo, s0
	v_and_b32_e32 v22, 1, v164
	global_wb scope:SCOPE_SE
	s_wait_storecnt_dscnt 0x0
	s_barrier_signal -1
	s_barrier_wait -1
	global_inv scope:SCOPE_SE
	v_lshlrev_b32_e32 v4, 5, v22
	s_mov_b32 s0, 0xe8584caa
	s_mov_b32 s1, 0x3febb67a
	;; [unrolled: 1-line block ×3, first 2 shown]
	s_wait_alu 0xfffe
	s_mov_b32 s10, s0
	s_clause 0x1
	global_load_b128 v[60:63], v4, s[2:3]
	global_load_b128 v[56:59], v4, s[2:3] offset:16
	ds_load_b128 v[8:11], v128 offset:10080
	ds_load_b128 v[4:7], v128 offset:20160
	;; [unrolled: 1-line block ×8, first 2 shown]
	s_wait_loadcnt_dscnt 0x105
	v_mul_f64_e32 v[47:48], v[14:15], v[62:63]
	s_wait_loadcnt 0x0
	v_mul_f64_e32 v[43:44], v[6:7], v[58:59]
	v_mul_f64_e32 v[45:46], v[4:5], v[58:59]
	;; [unrolled: 1-line block ×5, first 2 shown]
	s_wait_dscnt 0x4
	v_mul_f64_e32 v[51:52], v[18:19], v[58:59]
	s_wait_dscnt 0x2
	v_mul_f64_e32 v[64:65], v[29:30], v[62:63]
	v_mul_f64_e32 v[53:54], v[16:17], v[58:59]
	;; [unrolled: 1-line block ×3, first 2 shown]
	v_fma_f64 v[47:48], v[12:13], v[60:61], -v[47:48]
	v_fma_f64 v[43:44], v[4:5], v[56:57], -v[43:44]
	v_fma_f64 v[45:46], v[6:7], v[56:57], v[45:46]
	ds_load_b128 v[4:7], v128 offset:18144
	v_fma_f64 v[49:50], v[14:15], v[60:61], v[49:50]
	s_wait_dscnt 0x1
	v_mul_f64_e32 v[12:13], v[33:34], v[58:59]
	v_mul_f64_e32 v[14:15], v[31:32], v[58:59]
	v_fma_f64 v[39:40], v[8:9], v[60:61], -v[39:40]
	v_fma_f64 v[41:42], v[10:11], v[60:61], v[41:42]
	ds_load_b128 v[8:11], v128 offset:26208
	v_fma_f64 v[51:52], v[16:17], v[56:57], -v[51:52]
	v_mul_f64_e32 v[16:17], v[37:38], v[62:63]
	v_fma_f64 v[64:65], v[27:28], v[60:61], -v[64:65]
	v_fma_f64 v[53:54], v[18:19], v[56:57], v[53:54]
	v_mul_f64_e32 v[18:19], v[35:36], v[62:63]
	v_fma_f64 v[66:67], v[29:30], v[60:61], v[66:67]
	v_fma_f64 v[68:69], v[31:32], v[56:57], -v[12:13]
	v_fma_f64 v[70:71], v[33:34], v[56:57], v[14:15]
	ds_load_b128 v[12:15], v128 offset:28224
	s_wait_dscnt 0x1
	v_mul_f64_e32 v[27:28], v[10:11], v[58:59]
	v_mul_f64_e32 v[29:30], v[8:9], v[58:59]
	v_fma_f64 v[72:73], v[35:36], v[60:61], -v[16:17]
	v_mul_f64_e32 v[16:17], v[6:7], v[62:63]
	v_add_f64_e64 v[35:36], v[49:50], -v[53:54]
	v_fma_f64 v[74:75], v[37:38], v[60:61], v[18:19]
	v_mul_f64_e32 v[18:19], v[4:5], v[62:63]
	v_fma_f64 v[76:77], v[8:9], v[56:57], -v[27:28]
	s_wait_dscnt 0x0
	v_mul_f64_e32 v[8:9], v[14:15], v[58:59]
	v_fma_f64 v[78:79], v[10:11], v[56:57], v[29:30]
	v_mul_f64_e32 v[10:11], v[12:13], v[58:59]
	v_fma_f64 v[80:81], v[4:5], v[60:61], -v[16:17]
	v_add_f64_e32 v[16:17], v[39:40], v[43:44]
	v_add_f64_e64 v[27:28], v[39:40], -v[43:44]
	v_fma_f64 v[82:83], v[6:7], v[60:61], v[18:19]
	v_fma_f64 v[84:85], v[12:13], v[56:57], -v[8:9]
	v_add_f64_e32 v[12:13], v[41:42], v[45:46]
	v_fma_f64 v[86:87], v[14:15], v[56:57], v[10:11]
	ds_load_b128 v[4:7], v128
	ds_load_b128 v[8:11], v128 offset:2016
	s_wait_dscnt 0x1
	v_fma_f64 v[14:15], v[16:17], -0.5, v[4:5]
	v_add_f64_e64 v[16:17], v[41:42], -v[45:46]
	v_add_f64_e32 v[4:5], v[4:5], v[39:40]
	v_fma_f64 v[18:19], v[12:13], -0.5, v[6:7]
	v_add_f64_e32 v[6:7], v[6:7], v[41:42]
	s_delay_alu instid0(VALU_DEP_4)
	v_fma_f64 v[12:13], v[16:17], s[0:1], v[14:15]
	s_wait_alu 0xfffe
	v_fma_f64 v[16:17], v[16:17], s[10:11], v[14:15]
	v_add_f64_e32 v[4:5], v[4:5], v[43:44]
	v_add_f64_e32 v[43:44], v[64:65], v[68:69]
	v_fma_f64 v[14:15], v[27:28], s[10:11], v[18:19]
	v_fma_f64 v[18:19], v[27:28], s[0:1], v[18:19]
	v_add_f64_e32 v[27:28], v[47:48], v[51:52]
	v_add_f64_e32 v[6:7], v[6:7], v[45:46]
	v_add_f64_e32 v[45:46], v[66:67], v[70:71]
	s_wait_dscnt 0x0
	s_delay_alu instid0(VALU_DEP_3) | instskip(SKIP_2) | instid1(VALU_DEP_3)
	v_fma_f64 v[33:34], v[27:28], -0.5, v[8:9]
	v_add_f64_e32 v[27:28], v[49:50], v[53:54]
	v_add_f64_e32 v[8:9], v[8:9], v[47:48]
	v_fma_f64 v[31:32], v[35:36], s[0:1], v[33:34]
	s_delay_alu instid0(VALU_DEP_3) | instskip(SKIP_1) | instid1(VALU_DEP_4)
	v_fma_f64 v[37:38], v[27:28], -0.5, v[10:11]
	v_add_f64_e32 v[10:11], v[10:11], v[49:50]
	v_add_f64_e32 v[27:28], v[8:9], v[51:52]
	v_add_f64_e64 v[8:9], v[47:48], -v[51:52]
	v_fma_f64 v[35:36], v[35:36], s[10:11], v[33:34]
	v_add_f64_e64 v[51:52], v[66:67], -v[70:71]
	v_add_f64_e32 v[29:30], v[10:11], v[53:54]
	s_delay_alu instid0(VALU_DEP_4)
	v_fma_f64 v[33:34], v[8:9], s[10:11], v[37:38]
	v_fma_f64 v[37:38], v[8:9], s[0:1], v[37:38]
	ds_load_b128 v[8:11], v128 offset:4032
	ds_load_b128 v[39:42], v128 offset:6048
	global_wb scope:SCOPE_SE
	s_wait_dscnt 0x0
	s_barrier_signal -1
	s_barrier_wait -1
	global_inv scope:SCOPE_SE
	v_fma_f64 v[43:44], v[43:44], -0.5, v[8:9]
	v_add_f64_e32 v[8:9], v[8:9], v[64:65]
	v_fma_f64 v[53:54], v[45:46], -0.5, v[10:11]
	v_add_f64_e32 v[10:11], v[10:11], v[66:67]
	s_delay_alu instid0(VALU_DEP_4) | instskip(NEXT) | instid1(VALU_DEP_4)
	v_fma_f64 v[49:50], v[51:52], s[0:1], v[43:44]
	v_add_f64_e32 v[45:46], v[8:9], v[68:69]
	v_add_f64_e64 v[8:9], v[64:65], -v[68:69]
	v_fma_f64 v[64:65], v[51:52], s[10:11], v[43:44]
	v_add_f64_e32 v[47:48], v[10:11], v[70:71]
	v_add_f64_e32 v[10:11], v[74:75], v[78:79]
	v_add_f64_e64 v[43:44], v[74:75], -v[78:79]
	v_fma_f64 v[51:52], v[8:9], s[10:11], v[53:54]
	v_fma_f64 v[66:67], v[8:9], s[0:1], v[53:54]
	v_add_f64_e32 v[8:9], v[72:73], v[76:77]
	v_fma_f64 v[10:11], v[10:11], -0.5, v[41:42]
	v_add_f64_e64 v[53:54], v[72:73], -v[76:77]
	v_add_f64_e32 v[41:42], v[41:42], v[74:75]
	s_delay_alu instid0(VALU_DEP_4) | instskip(SKIP_1) | instid1(VALU_DEP_4)
	v_fma_f64 v[8:9], v[8:9], -0.5, v[39:40]
	v_add_f64_e32 v[39:40], v[39:40], v[72:73]
	v_fma_f64 v[70:71], v[53:54], s[10:11], v[10:11]
	v_fma_f64 v[74:75], v[53:54], s[0:1], v[10:11]
	v_add_f64_e32 v[10:11], v[82:83], v[86:87]
	v_add_f64_e64 v[53:54], v[80:81], -v[84:85]
	v_add_f64_e32 v[41:42], v[41:42], v[78:79]
	v_fma_f64 v[68:69], v[43:44], s[0:1], v[8:9]
	v_fma_f64 v[72:73], v[43:44], s[10:11], v[8:9]
	v_add_f64_e32 v[8:9], v[80:81], v[84:85]
	v_add_f64_e64 v[43:44], v[82:83], -v[86:87]
	v_fma_f64 v[10:11], v[10:11], -0.5, v[25:26]
	v_add_f64_e32 v[25:26], v[25:26], v[82:83]
	v_add_f64_e32 v[39:40], v[39:40], v[76:77]
	v_fma_f64 v[8:9], v[8:9], -0.5, v[23:24]
	v_add_f64_e32 v[23:24], v[23:24], v[80:81]
	v_fma_f64 v[82:83], v[53:54], s[0:1], v[10:11]
	v_add_f64_e32 v[25:26], v[25:26], v[86:87]
	v_fma_f64 v[78:79], v[53:54], s[10:11], v[10:11]
	v_fma_f64 v[76:77], v[43:44], s[0:1], v[8:9]
	;; [unrolled: 1-line block ×3, first 2 shown]
	v_lshrrev_b32_e32 v8, 1, v164
	v_add_f64_e32 v[23:24], v[23:24], v[84:85]
	v_and_b32_e32 v44, 0xff, v164
	s_delay_alu instid0(VALU_DEP_3) | instskip(NEXT) | instid1(VALU_DEP_1)
	v_mul_u32_u24_e32 v8, 6, v8
	v_or_b32_e32 v8, v8, v22
	s_delay_alu instid0(VALU_DEP_1)
	v_lshlrev_b32_e32 v8, 4, v8
	ds_store_b128 v8, v[4:7]
	ds_store_b128 v8, v[12:15] offset:32
	v_lshrrev_b32_e32 v4, 1, v130
	v_mul_lo_u16 v5, 0xab, v44
	ds_store_b128 v8, v[16:19] offset:64
	v_lshrrev_b32_e32 v6, 1, v20
	v_mul_u32_u24_e32 v4, 6, v4
	s_delay_alu instid0(VALU_DEP_2) | instskip(NEXT) | instid1(VALU_DEP_2)
	v_mul_u32_u24_e32 v6, 6, v6
	v_or_b32_e32 v4, v4, v22
	s_delay_alu instid0(VALU_DEP_2) | instskip(NEXT) | instid1(VALU_DEP_2)
	v_or_b32_e32 v6, v6, v22
	v_lshlrev_b32_e32 v11, 4, v4
	scratch_store_b32 off, v8, off offset:456 ; 4-byte Folded Spill
	v_lshrrev_b16 v8, 10, v5
	v_lshrrev_b32_e32 v4, 1, v131
	v_lshrrev_b32_e32 v5, 1, v21
	scratch_store_b32 off, v11, off offset:464 ; 4-byte Folded Spill
	ds_store_b128 v11, v[27:30]
	ds_store_b128 v11, v[31:34] offset:32
	v_mul_lo_u16 v7, v8, 6
	v_mul_u32_u24_e32 v4, 6, v4
	v_mul_u32_u24_e32 v5, 6, v5
	v_and_b32_e32 v8, 0xffff, v8
	s_delay_alu instid0(VALU_DEP_4) | instskip(NEXT) | instid1(VALU_DEP_4)
	v_sub_nc_u16 v7, v164, v7
	v_or_b32_e32 v4, v4, v22
	s_delay_alu instid0(VALU_DEP_4) | instskip(NEXT) | instid1(VALU_DEP_4)
	v_or_b32_e32 v5, v5, v22
	v_mul_u32_u24_e32 v8, 18, v8
	s_delay_alu instid0(VALU_DEP_4) | instskip(NEXT) | instid1(VALU_DEP_4)
	v_and_b32_e32 v9, 0xff, v7
	v_lshlrev_b32_e32 v10, 4, v4
	s_delay_alu instid0(VALU_DEP_4)
	v_lshlrev_b32_e32 v7, 4, v5
	v_lshlrev_b32_e32 v5, 4, v6
	ds_store_b128 v11, v[35:38] offset:64
	ds_store_b128 v10, v[45:48]
	ds_store_b128 v10, v[49:52] offset:32
	v_lshlrev_b32_e32 v4, 5, v9
	scratch_store_b32 off, v10, off offset:460 ; 4-byte Folded Spill
	ds_store_b128 v10, v[64:67] offset:64
	ds_store_b128 v7, v[39:42]
	ds_store_b128 v7, v[68:71] offset:32
	scratch_store_b32 off, v7, off offset:452 ; 4-byte Folded Spill
	ds_store_b128 v7, v[72:75] offset:64
	ds_store_b128 v5, v[23:26]
	ds_store_b128 v5, v[76:79] offset:32
	scratch_store_b32 off, v5, off offset:432 ; 4-byte Folded Spill
	ds_store_b128 v5, v[80:83] offset:64
	global_wb scope:SCOPE_SE
	s_wait_storecnt_dscnt 0x0
	s_barrier_signal -1
	s_barrier_wait -1
	global_inv scope:SCOPE_SE
	s_clause 0x1
	global_load_b128 v[36:39], v4, s[2:3] offset:64
	global_load_b128 v[40:43], v4, s[2:3] offset:80
	v_and_b32_e32 v45, 0xff, v130
	v_add_lshl_u32 v8, v8, v9, 4
	s_delay_alu instid0(VALU_DEP_2) | instskip(NEXT) | instid1(VALU_DEP_1)
	v_mul_lo_u16 v4, 0xab, v45
	v_lshrrev_b16 v10, 10, v4
	s_delay_alu instid0(VALU_DEP_1) | instskip(NEXT) | instid1(VALU_DEP_1)
	v_mul_lo_u16 v4, v10, 6
	v_sub_nc_u16 v4, v130, v4
	s_delay_alu instid0(VALU_DEP_1) | instskip(NEXT) | instid1(VALU_DEP_1)
	v_and_b32_e32 v11, 0xff, v4
	v_lshlrev_b32_e32 v4, 5, v11
	s_clause 0x1
	global_load_b128 v[46:49], v4, s[2:3] offset:64
	global_load_b128 v[50:53], v4, s[2:3] offset:80
	ds_load_b128 v[4:7], v128 offset:10080
	ds_load_b128 v[12:15], v128 offset:8064
	;; [unrolled: 1-line block ×4, first 2 shown]
	s_wait_loadcnt_dscnt 0x303
	v_mul_f64_e32 v[26:27], v[6:7], v[38:39]
	v_mul_f64_e32 v[28:29], v[4:5], v[38:39]
	s_wait_loadcnt_dscnt 0x201
	v_mul_f64_e32 v[30:31], v[18:19], v[42:43]
	v_mul_f64_e32 v[32:33], v[16:17], v[42:43]
	s_clause 0x1
	scratch_store_b128 off, v[36:39], off offset:348
	scratch_store_b128 off, v[40:43], off offset:364
	s_wait_loadcnt 0x1
	scratch_store_b128 off, v[46:49], off offset:380 ; 16-byte Folded Spill
	s_wait_loadcnt 0x0
	scratch_store_b128 off, v[50:53], off offset:396 ; 16-byte Folded Spill
	v_fma_f64 v[34:35], v[4:5], v[36:37], -v[26:27]
	v_fma_f64 v[36:37], v[6:7], v[36:37], v[28:29]
	ds_load_b128 v[4:7], v128 offset:12096
	v_fma_f64 v[30:31], v[16:17], v[40:41], -v[30:31]
	v_fma_f64 v[32:33], v[18:19], v[40:41], v[32:33]
	ds_load_b128 v[16:19], v128 offset:14112
	s_wait_dscnt 0x1
	v_mul_f64_e32 v[26:27], v[6:7], v[48:49]
	s_delay_alu instid0(VALU_DEP_1) | instskip(SKIP_1) | instid1(VALU_DEP_1)
	v_fma_f64 v[38:39], v[4:5], v[46:47], -v[26:27]
	v_mul_f64_e32 v[4:5], v[4:5], v[48:49]
	v_fma_f64 v[40:41], v[6:7], v[46:47], v[4:5]
	v_mul_f64_e32 v[4:5], v[24:25], v[52:53]
	s_delay_alu instid0(VALU_DEP_1) | instskip(SKIP_1) | instid1(VALU_DEP_1)
	v_fma_f64 v[42:43], v[22:23], v[50:51], -v[4:5]
	v_mul_f64_e32 v[4:5], v[22:23], v[52:53]
	v_fma_f64 v[46:47], v[24:25], v[50:51], v[4:5]
	v_and_b32_e32 v4, 0xffff, v131
	s_delay_alu instid0(VALU_DEP_1) | instskip(SKIP_1) | instid1(VALU_DEP_2)
	v_mul_u32_u24_e32 v5, 0xaaab, v4
	v_mul_u32_u24_e32 v4, 0xe38f, v4
	v_lshrrev_b32_e32 v96, 18, v5
	s_delay_alu instid0(VALU_DEP_1) | instskip(NEXT) | instid1(VALU_DEP_1)
	v_mul_lo_u16 v5, v96, 6
	v_sub_nc_u16 v97, v131, v5
	s_delay_alu instid0(VALU_DEP_1) | instskip(NEXT) | instid1(VALU_DEP_1)
	v_lshlrev_b16 v5, 5, v97
	v_and_b32_e32 v5, 0xffff, v5
	s_delay_alu instid0(VALU_DEP_1)
	v_add_co_u32 v5, s12, s2, v5
	s_wait_alu 0xf1ff
	v_add_co_ci_u32_e64 v6, null, s3, 0, s12
	s_clause 0x1
	global_load_b128 v[176:179], v[5:6], off offset:64
	global_load_b128 v[168:171], v[5:6], off offset:80
	s_wait_loadcnt_dscnt 0x100
	v_mul_f64_e32 v[5:6], v[18:19], v[178:179]
	s_delay_alu instid0(VALU_DEP_1) | instskip(SKIP_1) | instid1(VALU_DEP_1)
	v_fma_f64 v[54:55], v[16:17], v[176:177], -v[5:6]
	v_mul_f64_e32 v[5:6], v[16:17], v[178:179]
	v_fma_f64 v[64:65], v[18:19], v[176:177], v[5:6]
	ds_load_b128 v[16:19], v128 offset:24192
	ds_load_b128 v[22:25], v128 offset:26208
	s_wait_loadcnt_dscnt 0x1
	v_mul_f64_e32 v[5:6], v[18:19], v[170:171]
	s_delay_alu instid0(VALU_DEP_1) | instskip(SKIP_1) | instid1(VALU_DEP_1)
	v_fma_f64 v[66:67], v[16:17], v[168:169], -v[5:6]
	v_mul_f64_e32 v[5:6], v[16:17], v[170:171]
	v_fma_f64 v[68:69], v[18:19], v[168:169], v[5:6]
	v_and_b32_e32 v5, 0xffff, v21
	s_delay_alu instid0(VALU_DEP_1) | instskip(NEXT) | instid1(VALU_DEP_1)
	v_mul_u32_u24_e32 v6, 0xaaab, v5
	v_lshrrev_b32_e32 v98, 18, v6
	s_delay_alu instid0(VALU_DEP_1) | instskip(NEXT) | instid1(VALU_DEP_1)
	v_mul_lo_u16 v6, v98, 6
	v_sub_nc_u16 v99, v21, v6
	s_delay_alu instid0(VALU_DEP_1) | instskip(NEXT) | instid1(VALU_DEP_1)
	v_lshlrev_b16 v6, 5, v99
	v_and_b32_e32 v6, 0xffff, v6
	s_delay_alu instid0(VALU_DEP_1)
	v_add_co_u32 v6, s12, s2, v6
	s_wait_alu 0xf1ff
	v_add_co_ci_u32_e64 v7, null, s3, 0, s12
	s_clause 0x1
	global_load_b128 v[188:191], v[6:7], off offset:64
	global_load_b128 v[180:183], v[6:7], off offset:80
	ds_load_b128 v[16:19], v128 offset:16128
	ds_load_b128 v[26:29], v128 offset:18144
	v_add_f64_e32 v[70:71], v[64:65], v[68:69]
	v_add_f64_e64 v[80:81], v[64:65], -v[68:69]
	s_wait_loadcnt_dscnt 0x101
	v_mul_f64_e32 v[6:7], v[18:19], v[190:191]
	s_delay_alu instid0(VALU_DEP_1) | instskip(SKIP_1) | instid1(VALU_DEP_1)
	v_fma_f64 v[72:73], v[16:17], v[188:189], -v[6:7]
	v_mul_f64_e32 v[6:7], v[16:17], v[190:191]
	v_fma_f64 v[74:75], v[18:19], v[188:189], v[6:7]
	s_wait_loadcnt 0x0
	v_mul_f64_e32 v[6:7], v[24:25], v[182:183]
	s_delay_alu instid0(VALU_DEP_1) | instskip(SKIP_1) | instid1(VALU_DEP_1)
	v_fma_f64 v[76:77], v[22:23], v[180:181], -v[6:7]
	v_mul_f64_e32 v[6:7], v[22:23], v[182:183]
	v_fma_f64 v[78:79], v[24:25], v[180:181], v[6:7]
	v_and_b32_e32 v6, 0xffff, v20
	s_delay_alu instid0(VALU_DEP_1) | instskip(NEXT) | instid1(VALU_DEP_1)
	v_mul_u32_u24_e32 v7, 0xaaab, v6
	v_lshrrev_b32_e32 v7, 18, v7
	s_delay_alu instid0(VALU_DEP_1) | instskip(NEXT) | instid1(VALU_DEP_1)
	v_mul_lo_u16 v16, v7, 6
	v_sub_nc_u16 v100, v20, v16
	s_delay_alu instid0(VALU_DEP_1) | instskip(SKIP_1) | instid1(VALU_DEP_2)
	v_lshlrev_b16 v16, 5, v100
	v_mad_u16 v7, v7, 18, v100
	v_and_b32_e32 v16, 0xffff, v16
	s_delay_alu instid0(VALU_DEP_2) | instskip(NEXT) | instid1(VALU_DEP_2)
	v_and_b32_e32 v7, 0xffff, v7
	v_add_co_u32 v16, s12, s2, v16
	s_wait_alu 0xf1ff
	v_add_co_ci_u32_e64 v17, null, s3, 0, s12
	s_clause 0x1
	global_load_b128 v[204:207], v[16:17], off offset:64
	global_load_b128 v[200:203], v[16:17], off offset:80
	v_lshlrev_b32_e32 v7, 4, v7
	s_wait_loadcnt_dscnt 0x100
	v_mul_f64_e32 v[16:17], v[28:29], v[206:207]
	s_delay_alu instid0(VALU_DEP_1) | instskip(SKIP_2) | instid1(VALU_DEP_2)
	v_fma_f64 v[88:89], v[26:27], v[204:205], -v[16:17]
	v_mul_f64_e32 v[16:17], v[26:27], v[206:207]
	v_add_f64_e32 v[26:27], v[34:35], v[30:31]
	v_fma_f64 v[90:91], v[28:29], v[204:205], v[16:17]
	ds_load_b128 v[16:19], v128 offset:28224
	s_wait_loadcnt_dscnt 0x0
	v_mul_f64_e32 v[22:23], v[18:19], v[202:203]
	s_delay_alu instid0(VALU_DEP_1) | instskip(SKIP_1) | instid1(VALU_DEP_1)
	v_fma_f64 v[92:93], v[16:17], v[200:201], -v[22:23]
	v_mul_f64_e32 v[16:17], v[16:17], v[202:203]
	v_fma_f64 v[94:95], v[18:19], v[200:201], v[16:17]
	ds_load_b128 v[16:19], v128
	ds_load_b128 v[22:25], v128 offset:2016
	s_wait_dscnt 0x1
	v_fma_f64 v[28:29], v[26:27], -0.5, v[16:17]
	v_add_f64_e32 v[26:27], v[36:37], v[32:33]
	v_add_f64_e32 v[16:17], v[16:17], v[34:35]
	s_delay_alu instid0(VALU_DEP_2) | instskip(SKIP_2) | instid1(VALU_DEP_4)
	v_fma_f64 v[48:49], v[26:27], -0.5, v[18:19]
	v_add_f64_e32 v[18:19], v[18:19], v[36:37]
	v_add_f64_e64 v[36:37], v[36:37], -v[32:33]
	v_add_f64_e32 v[16:17], v[16:17], v[30:31]
	s_delay_alu instid0(VALU_DEP_3) | instskip(SKIP_4) | instid1(VALU_DEP_4)
	v_add_f64_e32 v[18:19], v[18:19], v[32:33]
	v_add_f64_e64 v[32:33], v[34:35], -v[30:31]
	v_add_f64_e32 v[34:35], v[38:39], v[42:43]
	v_fma_f64 v[26:27], v[36:37], s[0:1], v[28:29]
	v_fma_f64 v[30:31], v[36:37], s[10:11], v[28:29]
	v_fma_f64 v[28:29], v[32:33], s[10:11], v[48:49]
	s_wait_dscnt 0x0
	s_delay_alu instid0(VALU_DEP_4) | instskip(SKIP_3) | instid1(VALU_DEP_3)
	v_fma_f64 v[36:37], v[34:35], -0.5, v[22:23]
	v_add_f64_e32 v[34:35], v[40:41], v[46:47]
	v_add_f64_e32 v[22:23], v[22:23], v[38:39]
	v_fma_f64 v[32:33], v[32:33], s[0:1], v[48:49]
	v_fma_f64 v[48:49], v[34:35], -0.5, v[24:25]
	v_add_f64_e32 v[24:25], v[24:25], v[40:41]
	v_add_f64_e64 v[40:41], v[40:41], -v[46:47]
	v_add_f64_e32 v[22:23], v[22:23], v[42:43]
	v_add_f64_e64 v[42:43], v[38:39], -v[42:43]
	s_delay_alu instid0(VALU_DEP_4) | instskip(NEXT) | instid1(VALU_DEP_4)
	v_add_f64_e32 v[24:25], v[24:25], v[46:47]
	v_fma_f64 v[34:35], v[40:41], s[0:1], v[36:37]
	v_fma_f64 v[38:39], v[40:41], s[10:11], v[36:37]
	s_delay_alu instid0(VALU_DEP_4)
	v_fma_f64 v[36:37], v[42:43], s[10:11], v[48:49]
	v_fma_f64 v[40:41], v[42:43], s[0:1], v[48:49]
	v_add_f64_e32 v[42:43], v[54:55], v[66:67]
	ds_load_b128 v[46:49], v128 offset:4032
	ds_load_b128 v[50:53], v128 offset:6048
	global_wb scope:SCOPE_SE
	s_wait_storecnt_dscnt 0x0
	s_barrier_signal -1
	s_barrier_wait -1
	global_inv scope:SCOPE_SE
	ds_store_b128 v8, v[16:19]
	ds_store_b128 v8, v[26:29] offset:96
	scratch_store_b32 off, v8, off offset:536 ; 4-byte Folded Spill
	ds_store_b128 v8, v[30:33] offset:192
	v_and_b32_e32 v8, 0xffff, v10
	s_delay_alu instid0(VALU_DEP_1) | instskip(NEXT) | instid1(VALU_DEP_1)
	v_mul_u32_u24_e32 v8, 18, v8
	v_add_lshl_u32 v8, v8, v11, 4
	v_fma_f64 v[70:71], v[70:71], -0.5, v[48:49]
	v_add_f64_e32 v[48:49], v[48:49], v[64:65]
	ds_store_b128 v8, v[22:25]
	ds_store_b128 v8, v[34:37] offset:96
	scratch_store_b32 off, v8, off offset:532 ; 4-byte Folded Spill
	ds_store_b128 v8, v[38:41] offset:192
	v_fma_f64 v[42:43], v[42:43], -0.5, v[46:47]
	v_add_f64_e32 v[46:47], v[46:47], v[54:55]
	v_add_f64_e64 v[54:55], v[54:55], -v[66:67]
	v_mad_u16 v8, v96, 18, v97
	v_lshrrev_b32_e32 v96, 20, v4
	s_delay_alu instid0(VALU_DEP_2) | instskip(NEXT) | instid1(VALU_DEP_2)
	v_and_b32_e32 v8, 0xffff, v8
	v_mul_lo_u16 v4, v96, 18
	s_delay_alu instid0(VALU_DEP_2) | instskip(NEXT) | instid1(VALU_DEP_2)
	v_lshlrev_b32_e32 v8, 4, v8
	v_sub_nc_u16 v97, v131, v4
	s_delay_alu instid0(VALU_DEP_1) | instskip(SKIP_1) | instid1(VALU_DEP_2)
	v_lshlrev_b16 v4, 5, v97
	v_add_f64_e32 v[48:49], v[48:49], v[68:69]
	v_and_b32_e32 v4, 0xffff, v4
	v_fma_f64 v[64:65], v[80:81], s[0:1], v[42:43]
	v_add_f64_e32 v[46:47], v[46:47], v[66:67]
	v_fma_f64 v[68:69], v[80:81], s[10:11], v[42:43]
	v_fma_f64 v[66:67], v[54:55], s[10:11], v[70:71]
	;; [unrolled: 1-line block ×3, first 2 shown]
	v_add_f64_e32 v[42:43], v[72:73], v[76:77]
	v_add_f64_e32 v[54:55], v[74:75], v[78:79]
	ds_store_b128 v8, v[46:49]
	ds_store_b128 v8, v[64:67] offset:96
	scratch_store_b32 off, v8, off offset:520 ; 4-byte Folded Spill
	ds_store_b128 v8, v[68:71] offset:192
	v_fma_f64 v[42:43], v[42:43], -0.5, v[50:51]
	v_fma_f64 v[54:55], v[54:55], -0.5, v[52:53]
	v_add_f64_e32 v[52:53], v[52:53], v[74:75]
	v_add_f64_e32 v[50:51], v[50:51], v[72:73]
	v_add_f64_e64 v[74:75], v[74:75], -v[78:79]
	v_add_f64_e64 v[72:73], v[72:73], -v[76:77]
	v_mad_u16 v8, v98, 18, v99
	s_delay_alu instid0(VALU_DEP_1) | instskip(NEXT) | instid1(VALU_DEP_1)
	v_and_b32_e32 v8, 0xffff, v8
	v_lshlrev_b32_e32 v8, 4, v8
	v_add_f64_e32 v[52:53], v[52:53], v[78:79]
	v_add_f64_e32 v[50:51], v[50:51], v[76:77]
	v_fma_f64 v[80:81], v[74:75], s[0:1], v[42:43]
	v_fma_f64 v[84:85], v[74:75], s[10:11], v[42:43]
	;; [unrolled: 1-line block ×4, first 2 shown]
	v_add_f64_e32 v[42:43], v[88:89], v[92:93]
	v_add_f64_e32 v[54:55], v[90:91], v[94:95]
	v_add_f64_e64 v[72:73], v[90:91], -v[94:95]
	v_add_f64_e64 v[74:75], v[88:89], -v[92:93]
	ds_store_b128 v8, v[50:53]
	ds_store_b128 v8, v[80:83] offset:96
	scratch_store_b32 off, v8, off offset:504 ; 4-byte Folded Spill
	ds_store_b128 v8, v[84:87] offset:192
	v_fma_f64 v[42:43], v[42:43], -0.5, v[12:13]
	v_fma_f64 v[54:55], v[54:55], -0.5, v[14:15]
	v_add_f64_e32 v[14:15], v[14:15], v[90:91]
	v_add_f64_e32 v[12:13], v[12:13], v[88:89]
	s_delay_alu instid0(VALU_DEP_4) | instskip(NEXT) | instid1(VALU_DEP_4)
	v_fma_f64 v[88:89], v[72:73], s[0:1], v[42:43]
	v_fma_f64 v[90:91], v[74:75], s[10:11], v[54:55]
	s_delay_alu instid0(VALU_DEP_4) | instskip(NEXT) | instid1(VALU_DEP_4)
	v_add_f64_e32 v[14:15], v[14:15], v[94:95]
	v_add_f64_e32 v[12:13], v[12:13], v[92:93]
	v_fma_f64 v[92:93], v[72:73], s[10:11], v[42:43]
	v_fma_f64 v[94:95], v[74:75], s[0:1], v[54:55]
	ds_store_b128 v7, v[12:15]
	ds_store_b128 v7, v[88:91] offset:96
	scratch_store_b32 off, v7, off offset:500 ; 4-byte Folded Spill
	ds_store_b128 v7, v[92:95] offset:192
	v_mul_lo_u16 v7, v44, 57
	global_wb scope:SCOPE_SE
	s_wait_storecnt_dscnt 0x0
	s_barrier_signal -1
	s_barrier_wait -1
	global_inv scope:SCOPE_SE
	v_lshrrev_b16 v9, 10, v7
	s_delay_alu instid0(VALU_DEP_1) | instskip(SKIP_1) | instid1(VALU_DEP_2)
	v_mul_lo_u16 v7, v9, 18
	v_and_b32_e32 v9, 0xffff, v9
	v_sub_nc_u16 v7, v164, v7
	s_delay_alu instid0(VALU_DEP_2) | instskip(NEXT) | instid1(VALU_DEP_2)
	v_mul_u32_u24_e32 v9, 54, v9
	v_and_b32_e32 v8, 0xff, v7
	s_delay_alu instid0(VALU_DEP_1)
	v_lshlrev_b32_e32 v7, 5, v8
	s_clause 0x1
	global_load_b128 v[22:25], v7, s[2:3] offset:256
	global_load_b128 v[34:37], v7, s[2:3] offset:272
	ds_load_b128 v[10:13], v128 offset:10080
	ds_load_b128 v[14:17], v128 offset:8064
	v_mul_lo_u16 v7, v45, 57
	v_add_lshl_u32 v8, v9, v8, 4
	s_delay_alu instid0(VALU_DEP_2) | instskip(NEXT) | instid1(VALU_DEP_1)
	v_lshrrev_b16 v94, 10, v7
	v_mul_lo_u16 v7, v94, 18
	s_delay_alu instid0(VALU_DEP_1) | instskip(NEXT) | instid1(VALU_DEP_1)
	v_sub_nc_u16 v7, v130, v7
	v_and_b32_e32 v95, 0xff, v7
	s_delay_alu instid0(VALU_DEP_1)
	v_lshlrev_b32_e32 v7, 5, v95
	s_wait_loadcnt_dscnt 0x101
	v_mul_f64_e32 v[18:19], v[12:13], v[24:25]
	scratch_store_b128 off, v[22:25], off offset:416 ; 16-byte Folded Spill
	v_fma_f64 v[30:31], v[10:11], v[22:23], -v[18:19]
	v_mul_f64_e32 v[10:11], v[10:11], v[24:25]
	s_delay_alu instid0(VALU_DEP_1)
	v_fma_f64 v[18:19], v[12:13], v[22:23], v[10:11]
	ds_load_b128 v[10:13], v128 offset:20160
	ds_load_b128 v[22:25], v128 offset:22176
	s_wait_loadcnt 0x0
	scratch_store_b128 off, v[34:37], off offset:436 ; 16-byte Folded Spill
	s_clause 0x1
	global_load_b128 v[38:41], v7, s[2:3] offset:256
	global_load_b128 v[46:49], v7, s[2:3] offset:272
	s_wait_dscnt 0x1
	v_mul_f64_e32 v[26:27], v[12:13], v[36:37]
	s_delay_alu instid0(VALU_DEP_1) | instskip(SKIP_1) | instid1(VALU_DEP_1)
	v_fma_f64 v[32:33], v[10:11], v[34:35], -v[26:27]
	v_mul_f64_e32 v[10:11], v[10:11], v[36:37]
	v_fma_f64 v[34:35], v[12:13], v[34:35], v[10:11]
	ds_load_b128 v[10:13], v128 offset:12096
	ds_load_b128 v[26:29], v128 offset:14112
	s_wait_loadcnt_dscnt 0x101
	v_mul_f64_e32 v[36:37], v[12:13], v[40:41]
	scratch_store_b128 off, v[38:41], off offset:484 ; 16-byte Folded Spill
	s_wait_loadcnt 0x0
	scratch_store_b128 off, v[46:49], off offset:468 ; 16-byte Folded Spill
	v_fma_f64 v[36:37], v[10:11], v[38:39], -v[36:37]
	v_mul_f64_e32 v[10:11], v[10:11], v[40:41]
	s_delay_alu instid0(VALU_DEP_1) | instskip(SKIP_1) | instid1(VALU_DEP_1)
	v_fma_f64 v[38:39], v[12:13], v[38:39], v[10:11]
	v_mul_f64_e32 v[10:11], v[24:25], v[48:49]
	v_fma_f64 v[40:41], v[22:23], v[46:47], -v[10:11]
	v_mul_f64_e32 v[10:11], v[22:23], v[48:49]
	s_delay_alu instid0(VALU_DEP_1)
	v_fma_f64 v[42:43], v[24:25], v[46:47], v[10:11]
	v_add_co_u32 v10, s12, s2, v4
	s_wait_alu 0xf1ff
	v_add_co_ci_u32_e64 v11, null, s3, 0, s12
	s_clause 0x1
	global_load_b128 v[124:127], v[10:11], off offset:256
	global_load_b128 v[120:123], v[10:11], off offset:272
	v_mul_u32_u24_e32 v4, 0xe38f, v5
	s_delay_alu instid0(VALU_DEP_1) | instskip(NEXT) | instid1(VALU_DEP_1)
	v_lshrrev_b32_e32 v98, 20, v4
	v_mul_lo_u16 v4, v98, 18
	s_delay_alu instid0(VALU_DEP_1) | instskip(NEXT) | instid1(VALU_DEP_1)
	v_sub_nc_u16 v99, v21, v4
	v_lshlrev_b16 v4, 5, v99
	s_delay_alu instid0(VALU_DEP_1) | instskip(NEXT) | instid1(VALU_DEP_1)
	v_and_b32_e32 v4, 0xffff, v4
	v_add_co_u32 v4, s12, s2, v4
	s_wait_alu 0xf1ff
	v_add_co_ci_u32_e64 v5, null, s3, 0, s12
	s_wait_loadcnt_dscnt 0x100
	v_mul_f64_e32 v[10:11], v[28:29], v[126:127]
	s_delay_alu instid0(VALU_DEP_1) | instskip(SKIP_1) | instid1(VALU_DEP_1)
	v_fma_f64 v[50:51], v[26:27], v[124:125], -v[10:11]
	v_mul_f64_e32 v[10:11], v[26:27], v[126:127]
	v_fma_f64 v[46:47], v[28:29], v[124:125], v[10:11]
	ds_load_b128 v[10:13], v128 offset:24192
	ds_load_b128 v[22:25], v128 offset:26208
	s_clause 0x1
	global_load_b128 v[132:135], v[4:5], off offset:256
	global_load_b128 v[68:71], v[4:5], off offset:272
	s_wait_loadcnt_dscnt 0x201
	v_mul_f64_e32 v[26:27], v[12:13], v[122:123]
	s_delay_alu instid0(VALU_DEP_1) | instskip(SKIP_1) | instid1(VALU_DEP_1)
	v_fma_f64 v[52:53], v[10:11], v[120:121], -v[26:27]
	v_mul_f64_e32 v[10:11], v[10:11], v[122:123]
	v_fma_f64 v[48:49], v[12:13], v[120:121], v[10:11]
	ds_load_b128 v[10:13], v128 offset:16128
	ds_load_b128 v[26:29], v128 offset:18144
	v_add_f64_e32 v[64:65], v[46:47], v[48:49]
	s_wait_loadcnt_dscnt 0x101
	v_mul_f64_e32 v[4:5], v[12:13], v[134:135]
	s_delay_alu instid0(VALU_DEP_1) | instskip(SKIP_1) | instid1(VALU_DEP_1)
	v_fma_f64 v[54:55], v[10:11], v[132:133], -v[4:5]
	v_mul_f64_e32 v[4:5], v[10:11], v[134:135]
	v_fma_f64 v[72:73], v[12:13], v[132:133], v[4:5]
	s_wait_loadcnt 0x0
	v_mul_f64_e32 v[4:5], v[24:25], v[70:71]
	s_delay_alu instid0(VALU_DEP_1) | instskip(SKIP_1) | instid1(VALU_DEP_1)
	v_fma_f64 v[74:75], v[22:23], v[68:69], -v[4:5]
	v_mul_f64_e32 v[4:5], v[22:23], v[70:71]
	v_fma_f64 v[76:77], v[24:25], v[68:69], v[4:5]
	v_mul_u32_u24_e32 v4, 0xe38f, v6
	s_delay_alu instid0(VALU_DEP_1) | instskip(NEXT) | instid1(VALU_DEP_1)
	v_lshrrev_b32_e32 v100, 20, v4
	v_mul_lo_u16 v4, v100, 18
	s_delay_alu instid0(VALU_DEP_1) | instskip(SKIP_1) | instid1(VALU_DEP_2)
	v_sub_nc_u16 v101, v20, v4
	v_add_f64_e32 v[20:21], v[30:31], v[32:33]
	v_lshlrev_b16 v4, 5, v101
	s_delay_alu instid0(VALU_DEP_1) | instskip(NEXT) | instid1(VALU_DEP_1)
	v_and_b32_e32 v4, 0xffff, v4
	v_add_co_u32 v4, s12, s2, v4
	s_wait_alu 0xf1ff
	v_add_co_ci_u32_e64 v5, null, s3, 0, s12
	s_clause 0x1
	global_load_b128 v[140:143], v[4:5], off offset:256
	global_load_b128 v[136:139], v[4:5], off offset:272
	s_wait_loadcnt_dscnt 0x100
	v_mul_f64_e32 v[4:5], v[28:29], v[142:143]
	s_delay_alu instid0(VALU_DEP_1) | instskip(SKIP_2) | instid1(VALU_DEP_2)
	v_fma_f64 v[78:79], v[26:27], v[140:141], -v[4:5]
	v_mul_f64_e32 v[4:5], v[26:27], v[142:143]
	v_add_f64_e64 v[26:27], v[18:19], -v[34:35]
	v_fma_f64 v[88:89], v[28:29], v[140:141], v[4:5]
	ds_load_b128 v[4:7], v128 offset:28224
	s_wait_loadcnt_dscnt 0x0
	v_mul_f64_e32 v[10:11], v[6:7], v[138:139]
	s_delay_alu instid0(VALU_DEP_1) | instskip(SKIP_1) | instid1(VALU_DEP_1)
	v_fma_f64 v[90:91], v[4:5], v[136:137], -v[10:11]
	v_mul_f64_e32 v[4:5], v[4:5], v[138:139]
	v_fma_f64 v[92:93], v[6:7], v[136:137], v[4:5]
	ds_load_b128 v[4:7], v128
	ds_load_b128 v[10:13], v128 offset:2016
	s_wait_dscnt 0x1
	v_fma_f64 v[24:25], v[20:21], -0.5, v[4:5]
	v_add_f64_e32 v[20:21], v[18:19], v[34:35]
	v_add_f64_e32 v[4:5], v[4:5], v[30:31]
	s_delay_alu instid0(VALU_DEP_3) | instskip(NEXT) | instid1(VALU_DEP_3)
	v_fma_f64 v[22:23], v[26:27], s[0:1], v[24:25]
	v_fma_f64 v[28:29], v[20:21], -0.5, v[6:7]
	v_add_f64_e32 v[6:7], v[6:7], v[18:19]
	s_delay_alu instid0(VALU_DEP_4)
	v_add_f64_e32 v[18:19], v[4:5], v[32:33]
	v_add_f64_e64 v[4:5], v[30:31], -v[32:33]
	v_fma_f64 v[26:27], v[26:27], s[10:11], v[24:25]
	v_add_f64_e64 v[32:33], v[38:39], -v[42:43]
	v_add_f64_e32 v[20:21], v[6:7], v[34:35]
	v_add_f64_e32 v[6:7], v[38:39], v[42:43]
	v_fma_f64 v[24:25], v[4:5], s[10:11], v[28:29]
	v_fma_f64 v[28:29], v[4:5], s[0:1], v[28:29]
	v_add_f64_e32 v[4:5], v[36:37], v[40:41]
	s_wait_dscnt 0x0
	s_delay_alu instid0(VALU_DEP_4) | instskip(SKIP_1) | instid1(VALU_DEP_3)
	v_fma_f64 v[6:7], v[6:7], -0.5, v[12:13]
	v_add_f64_e32 v[12:13], v[12:13], v[38:39]
	v_fma_f64 v[4:5], v[4:5], -0.5, v[10:11]
	v_add_f64_e32 v[10:11], v[10:11], v[36:37]
	v_add_f64_e64 v[36:37], v[36:37], -v[40:41]
	s_delay_alu instid0(VALU_DEP_4)
	v_add_f64_e32 v[12:13], v[12:13], v[42:43]
	v_add_f64_e32 v[42:43], v[50:51], v[52:53]
	v_fma_f64 v[30:31], v[32:33], s[0:1], v[4:5]
	v_add_f64_e32 v[10:11], v[10:11], v[40:41]
	v_fma_f64 v[34:35], v[32:33], s[10:11], v[4:5]
	v_fma_f64 v[32:33], v[36:37], s[10:11], v[6:7]
	;; [unrolled: 1-line block ×3, first 2 shown]
	ds_load_b128 v[4:7], v128 offset:4032
	ds_load_b128 v[38:41], v128 offset:6048
	global_wb scope:SCOPE_SE
	s_wait_storecnt_dscnt 0x0
	s_barrier_signal -1
	s_barrier_wait -1
	global_inv scope:SCOPE_SE
	ds_store_b128 v8, v[18:21]
	ds_store_b128 v8, v[22:25] offset:288
	scratch_store_b32 off, v8, off offset:528 ; 4-byte Folded Spill
	ds_store_b128 v8, v[26:29] offset:576
	v_and_b32_e32 v8, 0xffff, v94
                                        ; implicit-def: $vgpr24_vgpr25
                                        ; implicit-def: $vgpr28_vgpr29
                                        ; implicit-def: $vgpr20_vgpr21
	s_delay_alu instid0(VALU_DEP_1) | instskip(NEXT) | instid1(VALU_DEP_1)
	v_mul_u32_u24_e32 v8, 54, v8
	v_add_lshl_u32 v8, v8, v95, 4
	v_fma_f64 v[66:67], v[64:65], -0.5, v[6:7]
	v_add_f64_e32 v[6:7], v[6:7], v[46:47]
	v_add_f64_e64 v[64:65], v[46:47], -v[48:49]
	ds_store_b128 v8, v[10:13]
	ds_store_b128 v8, v[30:33] offset:288
	v_fma_f64 v[42:43], v[42:43], -0.5, v[4:5]
	v_add_f64_e32 v[4:5], v[4:5], v[50:51]
	scratch_store_b32 off, v8, off offset:524 ; 4-byte Folded Spill
	ds_store_b128 v8, v[34:37] offset:576
	v_mad_u16 v8, v96, 54, v97
                                        ; implicit-def: $vgpr32_vgpr33
	s_delay_alu instid0(VALU_DEP_1) | instskip(NEXT) | instid1(VALU_DEP_1)
	v_and_b32_e32 v8, 0xffff, v8
	v_lshlrev_b32_e32 v8, 4, v8
	v_add_f64_e32 v[48:49], v[6:7], v[48:49]
	v_add_f64_e32 v[6:7], v[72:73], v[76:77]
	;; [unrolled: 1-line block ×3, first 2 shown]
	v_add_f64_e64 v[4:5], v[50:51], -v[52:53]
	v_fma_f64 v[50:51], v[64:65], s[0:1], v[42:43]
	v_fma_f64 v[64:65], v[64:65], s[10:11], v[42:43]
	v_add_f64_e64 v[42:43], v[72:73], -v[76:77]
	v_fma_f64 v[6:7], v[6:7], -0.5, v[40:41]
	v_add_f64_e32 v[40:41], v[40:41], v[72:73]
	v_fma_f64 v[52:53], v[4:5], s[10:11], v[66:67]
	v_fma_f64 v[66:67], v[4:5], s[0:1], v[66:67]
	v_add_f64_e32 v[4:5], v[54:55], v[74:75]
	ds_store_b128 v8, v[46:49]
	ds_store_b128 v8, v[50:53] offset:288
	v_add_f64_e32 v[40:41], v[40:41], v[76:77]
	scratch_store_b32 off, v8, off offset:516 ; 4-byte Folded Spill
	v_fma_f64 v[4:5], v[4:5], -0.5, v[38:39]
	v_add_f64_e32 v[38:39], v[38:39], v[54:55]
	v_add_f64_e64 v[54:55], v[54:55], -v[74:75]
	ds_store_b128 v8, v[64:67] offset:576
	v_mad_u16 v8, v98, 54, v99
	s_delay_alu instid0(VALU_DEP_1) | instskip(NEXT) | instid1(VALU_DEP_1)
	v_and_b32_e32 v8, 0xffff, v8
	v_lshlrev_b32_e32 v8, 4, v8
	v_fma_f64 v[80:81], v[42:43], s[0:1], v[4:5]
	v_fma_f64 v[84:85], v[42:43], s[10:11], v[4:5]
	v_fma_f64 v[82:83], v[54:55], s[10:11], v[6:7]
	v_fma_f64 v[86:87], v[54:55], s[0:1], v[6:7]
	v_add_f64_e32 v[4:5], v[78:79], v[90:91]
	v_add_f64_e32 v[6:7], v[88:89], v[92:93]
	v_add_f64_e64 v[42:43], v[88:89], -v[92:93]
	v_add_f64_e64 v[54:55], v[78:79], -v[90:91]
	v_add_f64_e32 v[38:39], v[38:39], v[74:75]
	ds_store_b128 v8, v[38:41]
	ds_store_b128 v8, v[80:83] offset:288
	v_fma_f64 v[4:5], v[4:5], -0.5, v[14:15]
	v_fma_f64 v[6:7], v[6:7], -0.5, v[16:17]
	v_add_f64_e32 v[16:17], v[16:17], v[88:89]
	v_add_f64_e32 v[14:15], v[14:15], v[78:79]
	scratch_store_b32 off, v8, off offset:512 ; 4-byte Folded Spill
	ds_store_b128 v8, v[84:87] offset:576
	v_mad_u16 v8, v100, 54, v101
	s_delay_alu instid0(VALU_DEP_1) | instskip(NEXT) | instid1(VALU_DEP_1)
	v_and_b32_e32 v8, 0xffff, v8
	v_lshlrev_b32_e32 v8, 4, v8
	v_fma_f64 v[88:89], v[42:43], s[0:1], v[4:5]
	v_fma_f64 v[4:5], v[42:43], s[10:11], v[4:5]
	v_add_f64_e32 v[16:17], v[16:17], v[92:93]
	v_add_f64_e32 v[14:15], v[14:15], v[90:91]
	v_fma_f64 v[90:91], v[54:55], s[10:11], v[6:7]
	v_fma_f64 v[6:7], v[54:55], s[0:1], v[6:7]
	ds_store_b128 v8, v[14:17]
	ds_store_b128 v8, v[88:91] offset:288
	scratch_store_b32 off, v8, off offset:508 ; 4-byte Folded Spill
	ds_store_b128 v8, v[4:7] offset:576
	global_wb scope:SCOPE_SE
	s_wait_storecnt_dscnt 0x0
	s_barrier_signal -1
	s_barrier_wait -1
	global_inv scope:SCOPE_SE
	ds_load_b128 v[12:15], v128
	ds_load_b128 v[8:11], v128 offset:2016
	ds_load_b128 v[156:159], v128 offset:4320
	ds_load_b128 v[92:95], v128 offset:6336
	ds_load_b128 v[144:147], v128 offset:8640
	ds_load_b128 v[88:91], v128 offset:10656
	ds_load_b128 v[148:151], v128 offset:12960
	ds_load_b128 v[84:87], v128 offset:14976
	ds_load_b128 v[160:163], v128 offset:17280
	ds_load_b128 v[80:83], v128 offset:19296
	ds_load_b128 v[104:107], v128 offset:21600
	ds_load_b128 v[40:43], v128 offset:23616
	ds_load_b128 v[100:103], v128 offset:25920
	ds_load_b128 v[36:39], v128 offset:27936
	v_cmp_gt_u16_e64 s0, 18, v164
                                        ; implicit-def: $vgpr16_vgpr17
	s_delay_alu instid0(VALU_DEP_1)
	s_and_saveexec_b32 s1, s0
	s_cbranch_execz .LBB0_9
; %bb.8:
	ds_load_b128 v[4:7], v128 offset:4032
	ds_load_b128 v[0:3], v128 offset:8352
	;; [unrolled: 1-line block ×7, first 2 shown]
.LBB0_9:
	s_wait_alu 0xfffe
	s_or_b32 exec_lo, exec_lo, s1
	v_mul_lo_u16 v44, v44, 19
	s_mov_b32 s30, 0xe976ee23
	s_mov_b32 s31, 0xbfe11646
	;; [unrolled: 1-line block ×4, first 2 shown]
	v_lshrrev_b16 v44, 10, v44
	s_mov_b32 s20, 0x37e14327
	s_mov_b32 s11, 0x3fac98ee
	;; [unrolled: 1-line block ×4, first 2 shown]
	scratch_store_b32 off, v44, off offset:548 ; 4-byte Folded Spill
	v_mul_lo_u16 v44, v44, 54
	s_mov_b32 s26, 0xaaaaaaaa
	s_mov_b32 s28, 0x5476071b
	;; [unrolled: 1-line block ×4, first 2 shown]
	v_sub_nc_u16 v44, v164, v44
	s_mov_b32 s27, 0xbff2aaaa
	s_mov_b32 s29, 0x3fe77f67
	;; [unrolled: 1-line block ×4, first 2 shown]
	v_and_b32_e32 v129, 0xff, v44
	v_mul_lo_u16 v44, v45, 19
	s_mov_b32 s19, 0x3fd5d0dc
	s_mov_b32 s25, 0xbfd5d0dc
	;; [unrolled: 1-line block ×3, first 2 shown]
	v_mad_co_u64_u32 v[46:47], null, 0x60, v129, s[2:3]
	v_lshrrev_b16 v44, 10, v44
	s_mov_b32 s22, s28
	scratch_store_b32 off, v44, off offset:544 ; 4-byte Folded Spill
	s_clause 0x1
	global_load_b128 v[152:155], v[46:47], off offset:832
	global_load_b128 v[172:175], v[46:47], off offset:896
	v_mul_lo_u16 v44, v44, 54
	global_load_b128 v[184:187], v[46:47], off offset:912
	v_sub_nc_u16 v44, v130, v44
	s_delay_alu instid0(VALU_DEP_1)
	v_and_b32_e32 v44, 0xff, v44
	s_clause 0x1
	scratch_store_b32 off, v164, off offset:248
	scratch_store_b32 off, v44, off offset:540
	v_mad_co_u64_u32 v[44:45], null, 0x60, v44, s[2:3]
	s_clause 0x4
	global_load_b128 v[192:195], v[44:45], off offset:832
	global_load_b128 v[196:199], v[44:45], off offset:848
	;; [unrolled: 1-line block ×5, first 2 shown]
	s_wait_loadcnt_dscnt 0x70b
	v_mul_f64_e32 v[48:49], v[158:159], v[154:155]
	s_delay_alu instid0(VALU_DEP_1) | instskip(SKIP_1) | instid1(VALU_DEP_1)
	v_fma_f64 v[218:219], v[156:157], v[152:153], -v[48:49]
	v_mul_f64_e32 v[48:49], v[156:157], v[154:155]
	v_fma_f64 v[216:217], v[158:159], v[152:153], v[48:49]
	global_load_b128 v[156:159], v[46:47], off offset:848
	s_wait_loadcnt_dscnt 0x9
	v_mul_f64_e32 v[48:49], v[146:147], v[158:159]
	s_delay_alu instid0(VALU_DEP_1) | instskip(SKIP_1) | instid1(VALU_DEP_1)
	v_fma_f64 v[222:223], v[144:145], v[156:157], -v[48:49]
	v_mul_f64_e32 v[48:49], v[144:145], v[158:159]
	v_fma_f64 v[254:255], v[146:147], v[156:157], v[48:49]
	global_load_b128 v[144:147], v[46:47], off offset:864
	s_wait_loadcnt_dscnt 0x7
	v_mul_f64_e32 v[48:49], v[150:151], v[146:147]
	s_delay_alu instid0(VALU_DEP_1) | instskip(SKIP_1) | instid1(VALU_DEP_1)
	v_fma_f64 v[238:239], v[148:149], v[144:145], -v[48:49]
	v_mul_f64_e32 v[48:49], v[148:149], v[146:147]
	v_fma_f64 v[236:237], v[150:151], v[144:145], v[48:49]
	global_load_b128 v[148:151], v[46:47], off offset:880
	s_wait_dscnt 0x1
	v_mul_f64_e32 v[46:47], v[102:103], v[186:187]
	s_wait_loadcnt 0x0
	v_mul_f64_e32 v[48:49], v[162:163], v[150:151]
	s_delay_alu instid0(VALU_DEP_1) | instskip(SKIP_1) | instid1(VALU_DEP_1)
	v_fma_f64 v[230:231], v[160:161], v[148:149], -v[48:49]
	v_mul_f64_e32 v[48:49], v[160:161], v[150:151]
	v_fma_f64 v[252:253], v[162:163], v[148:149], v[48:49]
	global_load_b128 v[160:163], v[44:45], off offset:864
	v_mul_f64_e32 v[48:49], v[106:107], v[174:175]
	s_delay_alu instid0(VALU_DEP_1) | instskip(SKIP_1) | instid1(VALU_DEP_1)
	v_fma_f64 v[232:233], v[104:105], v[172:173], -v[48:49]
	v_mul_f64_e32 v[48:49], v[104:105], v[174:175]
	v_fma_f64 v[104:105], v[106:107], v[172:173], v[48:49]
	v_fma_f64 v[106:107], v[100:101], v[184:185], -v[46:47]
	v_mul_f64_e32 v[46:47], v[100:101], v[186:187]
	s_delay_alu instid0(VALU_DEP_1) | instskip(SKIP_1) | instid1(VALU_DEP_1)
	v_fma_f64 v[100:101], v[102:103], v[184:185], v[46:47]
	v_mul_f64_e32 v[46:47], v[94:95], v[194:195]
	v_fma_f64 v[250:251], v[92:93], v[192:193], -v[46:47]
	v_mul_f64_e32 v[46:47], v[92:93], v[194:195]
	s_delay_alu instid0(VALU_DEP_1) | instskip(SKIP_1) | instid1(VALU_DEP_1)
	v_fma_f64 v[248:249], v[94:95], v[192:193], v[46:47]
	v_mul_f64_e32 v[46:47], v[90:91], v[198:199]
	v_fma_f64 v[50:51], v[88:89], v[196:197], -v[46:47]
	v_mul_f64_e32 v[46:47], v[88:89], v[198:199]
	s_delay_alu instid0(VALU_DEP_1) | instskip(SKIP_2) | instid1(VALU_DEP_1)
	v_fma_f64 v[48:49], v[90:91], v[196:197], v[46:47]
	s_wait_loadcnt 0x0
	v_mul_f64_e32 v[46:47], v[86:87], v[162:163]
	v_fma_f64 v[54:55], v[84:85], v[160:161], -v[46:47]
	v_mul_f64_e32 v[46:47], v[84:85], v[162:163]
	s_delay_alu instid0(VALU_DEP_1) | instskip(SKIP_1) | instid1(VALU_DEP_1)
	v_fma_f64 v[52:53], v[86:87], v[160:161], v[46:47]
	v_mul_f64_e32 v[46:47], v[82:83], v[166:167]
	v_fma_f64 v[84:85], v[80:81], v[164:165], -v[46:47]
	v_mul_f64_e32 v[46:47], v[80:81], v[166:167]
	s_delay_alu instid0(VALU_DEP_2) | instskip(NEXT) | instid1(VALU_DEP_2)
	v_add_f64_e32 v[66:67], v[54:55], v[84:85]
	v_fma_f64 v[80:81], v[82:83], v[164:165], v[46:47]
	v_mul_f64_e32 v[46:47], v[42:43], v[210:211]
	s_delay_alu instid0(VALU_DEP_2) | instskip(NEXT) | instid1(VALU_DEP_2)
	v_add_f64_e32 v[220:221], v[52:53], v[80:81]
	v_fma_f64 v[86:87], v[40:41], v[208:209], -v[46:47]
	v_mul_f64_e32 v[40:41], v[40:41], v[210:211]
	s_delay_alu instid0(VALU_DEP_2) | instskip(NEXT) | instid1(VALU_DEP_2)
	v_add_f64_e32 v[72:73], v[50:51], v[86:87]
	v_fma_f64 v[82:83], v[42:43], v[208:209], v[40:41]
	s_wait_dscnt 0x0
	v_mul_f64_e32 v[40:41], v[38:39], v[214:215]
	s_delay_alu instid0(VALU_DEP_2) | instskip(NEXT) | instid1(VALU_DEP_2)
	v_add_f64_e32 v[78:79], v[48:49], v[82:83]
	v_fma_f64 v[88:89], v[36:37], v[212:213], -v[40:41]
	v_mul_f64_e32 v[36:37], v[36:37], v[214:215]
	s_delay_alu instid0(VALU_DEP_1) | instskip(SKIP_1) | instid1(VALU_DEP_1)
	v_fma_f64 v[36:37], v[38:39], v[212:213], v[36:37]
	v_lshrrev_b16 v38, 1, v131
	v_and_b32_e32 v38, 0xffff, v38
	s_delay_alu instid0(VALU_DEP_1) | instskip(NEXT) | instid1(VALU_DEP_1)
	v_mul_u32_u24_e32 v38, 0x97b5, v38
	v_lshrrev_b32_e32 v38, 20, v38
	s_delay_alu instid0(VALU_DEP_1) | instskip(NEXT) | instid1(VALU_DEP_1)
	v_mul_lo_u16 v38, v38, 54
	v_sub_nc_u16 v228, v131, v38
	s_delay_alu instid0(VALU_DEP_1) | instskip(NEXT) | instid1(VALU_DEP_1)
	v_mul_lo_u16 v38, 0x60, v228
	v_and_b32_e32 v38, 0xffff, v38
	v_add_f64_e32 v[76:77], v[248:249], v[36:37]
	v_add_f64_e64 v[36:37], v[248:249], -v[36:37]
	s_delay_alu instid0(VALU_DEP_3)
	v_add_co_u32 v38, s1, s2, v38
	s_wait_alu 0xf1ff
	v_add_co_ci_u32_e64 v39, null, s3, 0, s1
	global_load_b128 v[42:45], v[38:39], off offset:832
	s_wait_loadcnt 0x0
	v_mul_f64_e32 v[40:41], v[2:3], v[44:45]
	scratch_store_b128 off, v[42:45], off offset:552 ; 16-byte Folded Spill
	v_fma_f64 v[92:93], v[0:1], v[42:43], -v[40:41]
	v_mul_f64_e32 v[0:1], v[0:1], v[44:45]
	s_delay_alu instid0(VALU_DEP_1) | instskip(SKIP_3) | instid1(VALU_DEP_1)
	v_fma_f64 v[90:91], v[2:3], v[42:43], v[0:1]
	global_load_b128 v[40:43], v[38:39], off offset:848
	s_wait_loadcnt 0x0
	v_mul_f64_e32 v[0:1], v[26:27], v[42:43]
	v_fma_f64 v[102:103], v[24:25], v[40:41], -v[0:1]
	v_mul_f64_e32 v[0:1], v[24:25], v[42:43]
	s_delay_alu instid0(VALU_DEP_1)
	v_fma_f64 v[94:95], v[26:27], v[40:41], v[0:1]
	global_load_b128 v[24:27], v[38:39], off offset:864
	scratch_store_b128 off, v[40:43], off offset:568 ; 16-byte Folded Spill
	v_add_f64_e64 v[40:41], v[230:231], -v[238:239]
	v_add_f64_e64 v[42:43], v[218:219], -v[106:107]
	s_wait_loadcnt 0x0
	scratch_store_b128 off, v[24:27], off offset:584 ; 16-byte Folded Spill
	v_mul_f64_e32 v[0:1], v[30:31], v[26:27]
	s_delay_alu instid0(VALU_DEP_1) | instskip(SKIP_1) | instid1(VALU_DEP_1)
	v_fma_f64 v[234:235], v[28:29], v[24:25], -v[0:1]
	v_mul_f64_e32 v[0:1], v[28:29], v[26:27]
	v_fma_f64 v[28:29], v[30:31], v[24:25], v[0:1]
	global_load_b128 v[24:27], v[38:39], off offset:880
	s_wait_loadcnt 0x0
	v_mul_f64_e32 v[0:1], v[34:35], v[26:27]
	scratch_store_b128 off, v[24:27], off offset:600 ; 16-byte Folded Spill
	v_fma_f64 v[240:241], v[32:33], v[24:25], -v[0:1]
	v_mul_f64_e32 v[0:1], v[32:33], v[26:27]
	s_delay_alu instid0(VALU_DEP_2) | instskip(NEXT) | instid1(VALU_DEP_2)
	v_add_f64_e32 v[224:225], v[234:235], v[240:241]
	v_fma_f64 v[30:31], v[34:35], v[24:25], v[0:1]
	global_load_b128 v[24:27], v[38:39], off offset:896
	v_add_f64_e32 v[34:35], v[254:255], v[104:105]
	v_add_f64_e32 v[64:65], v[28:29], v[30:31]
	v_add_f64_e64 v[28:29], v[30:31], -v[28:29]
	s_wait_loadcnt 0x0
	v_mul_f64_e32 v[0:1], v[22:23], v[26:27]
	s_delay_alu instid0(VALU_DEP_1) | instskip(SKIP_1) | instid1(VALU_DEP_2)
	v_fma_f64 v[244:245], v[20:21], v[24:25], -v[0:1]
	v_mul_f64_e32 v[0:1], v[20:21], v[26:27]
	v_add_f64_e32 v[98:99], v[102:103], v[244:245]
	s_delay_alu instid0(VALU_DEP_2)
	v_fma_f64 v[242:243], v[22:23], v[24:25], v[0:1]
	global_load_b128 v[20:23], v[38:39], off offset:912
	scratch_store_b128 off, v[24:27], off offset:616 ; 16-byte Folded Spill
	v_add_f64_e32 v[24:25], v[216:217], v[100:101]
	v_add_f64_e32 v[26:27], v[236:237], v[252:253]
	;; [unrolled: 1-line block ×3, first 2 shown]
	v_add_f64_e64 v[100:101], v[216:217], -v[100:101]
	v_add_f64_e32 v[110:111], v[94:95], v[242:243]
	v_add_f64_e64 v[216:217], v[34:35], -v[24:25]
	s_wait_loadcnt 0x0
	scratch_store_b128 off, v[20:23], off offset:632 ; 16-byte Folded Spill
	v_mul_f64_e32 v[0:1], v[18:19], v[22:23]
	s_delay_alu instid0(VALU_DEP_1) | instskip(SKIP_3) | instid1(VALU_DEP_4)
	v_fma_f64 v[246:247], v[16:17], v[20:21], -v[0:1]
	v_mul_f64_e32 v[0:1], v[16:17], v[22:23]
	v_add_f64_e32 v[16:17], v[222:223], v[232:233]
	v_add_f64_e32 v[22:23], v[238:239], v[230:231]
	;; [unrolled: 1-line block ×3, first 2 shown]
	s_delay_alu instid0(VALU_DEP_4) | instskip(SKIP_1) | instid1(VALU_DEP_4)
	v_fma_f64 v[44:45], v[18:19], v[20:21], v[0:1]
	v_add_f64_e32 v[20:21], v[218:219], v[106:107]
	v_add_f64_e64 v[114:115], v[22:23], -v[16:17]
	s_delay_alu instid0(VALU_DEP_3) | instskip(NEXT) | instid1(VALU_DEP_3)
	v_add_f64_e32 v[226:227], v[90:91], v[44:45]
	v_add_f64_e32 v[0:1], v[16:17], v[20:21]
	v_add_f64_e64 v[106:107], v[16:17], -v[20:21]
	v_add_f64_e64 v[20:21], v[20:21], -v[22:23]
	;; [unrolled: 1-line block ×4, first 2 shown]
	v_add_f64_e32 v[18:19], v[22:23], v[0:1]
	v_add_f64_e32 v[0:1], v[34:35], v[24:25]
	v_add_f64_e64 v[34:35], v[26:27], -v[34:35]
	v_add_f64_e64 v[22:23], v[24:25], -v[26:27]
	;; [unrolled: 1-line block ×3, first 2 shown]
	v_mul_f64_e32 v[20:21], s[20:21], v[20:21]
	v_add_f64_e32 v[32:33], v[26:27], v[0:1]
	v_add_f64_e32 v[0:1], v[12:13], v[18:19]
	;; [unrolled: 1-line block ×3, first 2 shown]
	v_mul_f64_e32 v[22:23], s[20:21], v[22:23]
	s_delay_alu instid0(VALU_DEP_4) | instskip(SKIP_1) | instid1(VALU_DEP_4)
	v_add_f64_e32 v[2:3], v[14:15], v[32:33]
	v_add_f64_e64 v[14:15], v[254:255], -v[104:105]
	v_add_f64_e32 v[74:75], v[66:67], v[12:13]
	v_add_f64_e32 v[12:13], v[78:79], v[76:77]
	v_add_f64_e64 v[104:105], v[252:253], -v[236:237]
	v_fma_f64 v[32:33], v[32:33], s[26:27], v[2:3]
	s_delay_alu instid0(VALU_DEP_4) | instskip(NEXT) | instid1(VALU_DEP_4)
	v_add_f64_e32 v[8:9], v[8:9], v[74:75]
	v_add_f64_e32 v[96:97], v[220:221], v[12:13]
	;; [unrolled: 1-line block ×3, first 2 shown]
	v_add_f64_e64 v[229:230], v[104:105], -v[14:15]
	v_add_f64_e64 v[26:27], v[100:101], -v[104:105]
	;; [unrolled: 1-line block ×3, first 2 shown]
	v_fma_f64 v[74:75], v[74:75], s[26:27], v[8:9]
	v_add_f64_e32 v[10:11], v[10:11], v[96:97]
	v_add_f64_e32 v[108:109], v[224:225], v[12:13]
	;; [unrolled: 1-line block ×3, first 2 shown]
	v_mul_f64_e32 v[118:119], s[30:31], v[229:230]
	v_fma_f64 v[229:230], v[18:19], s[26:27], v[0:1]
	v_mul_f64_e32 v[46:47], s[20:21], v[46:47]
	v_fma_f64 v[96:97], v[96:97], s[26:27], v[10:11]
	v_add_f64_e32 v[4:5], v[4:5], v[108:109]
	v_add_f64_e32 v[112:113], v[64:65], v[12:13]
	v_add_f64_e64 v[12:13], v[222:223], -v[232:233]
	v_add_f64_e64 v[231:232], v[14:15], -v[100:101]
	s_delay_alu instid0(VALU_DEP_3) | instskip(NEXT) | instid1(VALU_DEP_3)
	v_add_f64_e32 v[6:7], v[6:7], v[112:113]
	v_add_f64_e64 v[218:219], v[40:41], -v[12:13]
	v_add_f64_e32 v[16:17], v[40:41], v[12:13]
	v_add_f64_e64 v[222:223], v[12:13], -v[42:43]
	v_add_f64_e32 v[12:13], v[104:105], v[14:15]
	s_wait_alu 0xfffe
	v_mul_f64_e32 v[14:15], s[10:11], v[34:35]
	v_fma_f64 v[104:105], v[216:217], s[22:23], -v[22:23]
	v_fma_f64 v[22:23], v[34:35], s[10:11], v[22:23]
	v_add_f64_e64 v[34:35], v[250:251], -v[88:89]
	v_fma_f64 v[90:91], v[112:113], s[26:27], v[6:7]
	v_mul_f64_e32 v[116:117], s[30:31], v[218:219]
	v_add_f64_e32 v[252:253], v[16:17], v[42:43]
	v_mul_f64_e32 v[40:41], s[14:15], v[222:223]
	v_add_f64_e32 v[254:255], v[12:13], v[100:101]
	v_mul_f64_e32 v[12:13], s[10:11], v[114:115]
	v_mul_f64_e32 v[42:43], s[14:15], v[231:232]
	v_fma_f64 v[14:15], v[216:217], s[28:29], -v[14:15]
	v_fma_f64 v[100:101], v[106:107], s[22:23], -v[20:21]
	v_fma_f64 v[20:21], v[114:115], s[10:11], v[20:21]
	v_add_f64_e32 v[104:105], v[104:105], v[32:33]
	v_add_f64_e32 v[22:23], v[22:23], v[32:33]
	v_fma_f64 v[16:17], v[222:223], s[14:15], -v[116:117]
	v_fma_f64 v[40:41], v[24:25], s[24:25], -v[40:41]
	v_fma_f64 v[24:25], v[24:25], s[18:19], v[116:117]
	v_fma_f64 v[12:13], v[106:107], s[28:29], -v[12:13]
	v_fma_f64 v[42:43], v[26:27], s[24:25], -v[42:43]
	v_fma_f64 v[26:27], v[26:27], s[18:19], v[118:119]
	v_add_f64_e32 v[236:237], v[14:15], v[32:33]
	v_add_f64_e32 v[100:101], v[100:101], v[229:230]
	;; [unrolled: 1-line block ×3, first 2 shown]
	v_add_f64_e64 v[32:33], v[84:85], -v[54:55]
	v_add_f64_e64 v[54:55], v[78:79], -v[76:77]
	v_fma_f64 v[18:19], v[252:253], s[12:13], v[16:17]
	v_fma_f64 v[16:17], v[231:232], s[14:15], -v[118:119]
	v_fma_f64 v[40:41], v[252:253], s[12:13], v[40:41]
	v_fma_f64 v[24:25], v[252:253], s[12:13], v[24:25]
	v_add_f64_e32 v[218:219], v[12:13], v[229:230]
	v_fma_f64 v[42:43], v[254:255], s[12:13], v[42:43]
	v_fma_f64 v[26:27], v[254:255], s[12:13], v[26:27]
	v_add_f64_e32 v[14:15], v[18:19], v[236:237]
	v_fma_f64 v[16:17], v[254:255], s[12:13], v[16:17]
	v_add_f64_e64 v[18:19], v[236:237], -v[18:19]
	v_add_f64_e64 v[238:239], v[104:105], -v[40:41]
	v_add_f64_e32 v[254:255], v[24:25], v[22:23]
	v_add_f64_e32 v[236:237], v[42:43], v[100:101]
	v_add_f64_e64 v[216:217], v[100:101], -v[42:43]
	v_add_f64_e64 v[42:43], v[22:23], -v[24:25]
	;; [unrolled: 1-line block ×7, first 2 shown]
	v_add_f64_e32 v[16:17], v[16:17], v[218:219]
	v_add_f64_e32 v[218:219], v[40:41], v[104:105]
	;; [unrolled: 1-line block ×3, first 2 shown]
	v_add_f64_e64 v[20:21], v[50:51], -v[86:87]
	v_add_f64_e64 v[50:51], v[72:73], -v[38:39]
	;; [unrolled: 1-line block ×8, first 2 shown]
	v_add_f64_e32 v[24:25], v[32:33], v[20:21]
	v_add_f64_e64 v[26:27], v[32:33], -v[20:21]
	v_add_f64_e64 v[78:79], v[20:21], -v[34:35]
	v_add_f64_e32 v[20:21], v[48:49], v[22:23]
	v_mul_f64_e32 v[22:23], s[10:11], v[72:73]
	v_mul_f64_e32 v[38:39], s[20:21], v[38:39]
	;; [unrolled: 1-line block ×3, first 2 shown]
	v_add_f64_e32 v[84:85], v[24:25], v[34:35]
	v_mul_f64_e32 v[34:35], s[14:15], v[82:83]
	v_mul_f64_e32 v[32:33], s[14:15], v[78:79]
	v_add_f64_e32 v[86:87], v[20:21], v[36:37]
	v_mul_f64_e32 v[20:21], s[10:11], v[52:53]
	v_add_f64_e64 v[36:37], v[36:37], -v[48:49]
	v_mul_f64_e32 v[48:49], s[20:21], v[66:67]
	v_fma_f64 v[22:23], v[54:55], s[28:29], -v[22:23]
	v_mul_f64_e32 v[88:89], s[30:31], v[26:27]
	v_fma_f64 v[32:33], v[76:77], s[24:25], -v[32:33]
	v_fma_f64 v[20:21], v[50:51], s[28:29], -v[20:21]
	;; [unrolled: 1-line block ×5, first 2 shown]
	v_fma_f64 v[36:37], v[36:37], s[18:19], v[80:81]
	v_fma_f64 v[38:39], v[52:53], s[10:11], v[38:39]
	;; [unrolled: 1-line block ×3, first 2 shown]
	v_fma_f64 v[24:25], v[78:79], s[14:15], -v[88:89]
	v_add_f64_e64 v[72:73], v[110:111], -v[226:227]
	v_add_f64_e32 v[104:105], v[22:23], v[96:97]
	v_fma_f64 v[66:67], v[84:85], s[12:13], v[32:33]
	v_add_f64_e32 v[100:101], v[20:21], v[74:75]
	v_fma_f64 v[32:33], v[86:87], s[12:13], v[34:35]
	v_add_f64_e32 v[34:35], v[50:51], v[74:75]
	v_add_f64_e32 v[50:51], v[54:55], v[96:97]
	v_fma_f64 v[52:53], v[86:87], s[12:13], v[36:37]
	v_add_f64_e32 v[54:55], v[38:39], v[74:75]
	v_add_f64_e32 v[48:49], v[48:49], v[96:97]
	v_fma_f64 v[26:27], v[84:85], s[12:13], v[24:25]
	v_fma_f64 v[24:25], v[82:83], s[14:15], -v[80:81]
	v_add_f64_e64 v[74:75], v[64:65], -v[110:111]
	v_add_f64_e64 v[64:65], v[226:227], -v[64:65]
	v_add_f64_e32 v[220:221], v[32:33], v[34:35]
	v_add_f64_e64 v[222:223], v[50:51], -v[66:67]
	v_add_f64_e64 v[32:33], v[34:35], -v[32:33]
	v_add_f64_e32 v[34:35], v[66:67], v[50:51]
	v_fma_f64 v[50:51], v[76:77], s[18:19], v[88:89]
	v_add_f64_e32 v[36:37], v[52:53], v[54:55]
	v_add_f64_e64 v[248:249], v[54:55], -v[52:53]
	v_add_f64_e64 v[54:55], v[94:95], -v[242:243]
	;; [unrolled: 1-line block ×4, first 2 shown]
	v_fma_f64 v[24:25], v[86:87], s[12:13], v[24:25]
	v_mul_f64_e32 v[86:87], s[10:11], v[74:75]
	v_fma_f64 v[88:89], v[108:109], s[26:27], v[4:5]
	v_add_f64_e32 v[22:23], v[26:27], v[104:105]
	v_add_f64_e64 v[26:27], v[104:105], -v[26:27]
	v_and_b32_e32 v246, 0xffff, v228
	v_fma_f64 v[50:51], v[84:85], s[12:13], v[50:51]
	v_add_f64_e64 v[82:83], v[28:29], -v[54:55]
	v_add_f64_e32 v[80:81], v[28:29], v[54:55]
	v_add_f64_e64 v[54:55], v[54:55], -v[30:31]
	v_mul_f64_e32 v[84:85], s[10:11], v[66:67]
	v_fma_f64 v[86:87], v[72:73], s[28:29], -v[86:87]
	v_add_f64_e64 v[28:29], v[30:31], -v[28:29]
	v_add_f64_e64 v[20:21], v[100:101], -v[24:25]
	v_add_f64_e32 v[24:25], v[24:25], v[100:101]
	v_add_f64_e64 v[38:39], v[48:49], -v[50:51]
	v_add_f64_e32 v[250:251], v[50:51], v[48:49]
	v_add_f64_e64 v[48:49], v[102:103], -v[244:245]
	v_add_f64_e64 v[50:51], v[240:241], -v[234:235]
	v_mul_f64_e32 v[82:83], s[30:31], v[82:83]
	v_add_f64_e32 v[80:81], v[80:81], v[30:31]
	v_fma_f64 v[84:85], v[44:45], s[28:29], -v[84:85]
	v_add_f64_e32 v[86:87], v[86:87], v[90:91]
	v_fma_f64 v[44:45], v[44:45], s[22:23], -v[46:47]
	v_add_f64_e64 v[78:79], v[50:51], -v[48:49]
	v_add_f64_e32 v[76:77], v[50:51], v[48:49]
	v_add_f64_e64 v[48:49], v[48:49], -v[52:53]
	v_fma_f64 v[94:95], v[54:55], s[14:15], -v[82:83]
	v_add_f64_e64 v[50:51], v[52:53], -v[50:51]
	v_add_f64_e32 v[84:85], v[84:85], v[88:89]
	v_add_f64_e32 v[44:45], v[44:45], v[88:89]
	v_mul_f64_e32 v[78:79], s[30:31], v[78:79]
	v_add_f64_e32 v[76:77], v[76:77], v[52:53]
	v_mul_f64_e32 v[30:31], s[14:15], v[48:49]
	v_mul_f64_e32 v[52:53], s[20:21], v[64:65]
	v_fma_f64 v[94:95], v[80:81], s[12:13], v[94:95]
	v_fma_f64 v[92:93], v[48:49], s[14:15], -v[78:79]
	v_mul_f64_e32 v[48:49], s[14:15], v[54:55]
	v_fma_f64 v[30:31], v[50:51], s[24:25], -v[30:31]
	v_fma_f64 v[54:55], v[72:73], s[22:23], -v[52:53]
	v_add_f64_e64 v[96:97], v[84:85], -v[94:95]
	v_add_f64_e32 v[84:85], v[94:95], v[84:85]
	v_fma_f64 v[92:93], v[76:77], s[12:13], v[92:93]
	v_fma_f64 v[48:49], v[28:29], s[24:25], -v[48:49]
	v_fma_f64 v[30:31], v[76:77], s[12:13], v[30:31]
	v_add_f64_e32 v[54:55], v[54:55], v[90:91]
	v_fma_f64 v[28:29], v[28:29], s[18:19], v[82:83]
	v_add_f64_e32 v[98:99], v[92:93], v[86:87]
	v_add_f64_e64 v[86:87], v[86:87], -v[92:93]
	v_fma_f64 v[48:49], v[80:81], s[12:13], v[48:49]
	s_clause 0x1
	scratch_store_b128 off, v[96:99], off offset:8
	scratch_store_b128 off, v[84:87], off offset:24
	v_add_f64_e32 v[84:85], v[48:49], v[44:45]
	v_add_f64_e64 v[86:87], v[54:55], -v[30:31]
	scratch_store_b128 off, v[84:87], off offset:40 ; 16-byte Folded Spill
	v_add_f64_e64 v[84:85], v[44:45], -v[48:49]
	v_add_f64_e32 v[86:87], v[30:31], v[54:55]
	v_fma_f64 v[30:31], v[50:51], s[18:19], v[78:79]
	v_fma_f64 v[44:45], v[66:67], s[10:11], v[46:47]
	;; [unrolled: 1-line block ×4, first 2 shown]
	s_delay_alu instid0(VALU_DEP_4) | instskip(NEXT) | instid1(VALU_DEP_4)
	v_fma_f64 v[48:49], v[76:77], s[12:13], v[30:31]
	v_add_f64_e32 v[44:45], v[44:45], v[88:89]
	s_delay_alu instid0(VALU_DEP_4) | instskip(NEXT) | instid1(VALU_DEP_2)
	v_add_f64_e32 v[46:47], v[46:47], v[90:91]
	v_add_f64_e32 v[28:29], v[50:51], v[44:45]
	s_delay_alu instid0(VALU_DEP_2)
	v_add_f64_e64 v[30:31], v[46:47], -v[48:49]
	v_add_f64_e64 v[44:45], v[44:45], -v[50:51]
	v_add_f64_e32 v[46:47], v[48:49], v[46:47]
	s_clause 0x1
	scratch_store_b128 off, v[84:87], off offset:56
	scratch_store_b128 off, v[44:47], off offset:72
	scratch_load_b32 v44, off, off offset:548 th:TH_LOAD_LU ; 4-byte Folded Reload
	global_wb scope:SCOPE_SE
	s_wait_loadcnt 0x0
	s_wait_storecnt 0x0
	s_barrier_signal -1
	s_barrier_wait -1
	global_inv scope:SCOPE_SE
	v_and_b32_e32 v44, 0xffff, v44
	s_delay_alu instid0(VALU_DEP_1) | instskip(NEXT) | instid1(VALU_DEP_1)
	v_mul_u32_u24_e32 v44, 0x17a, v44
	v_add_lshl_u32 v129, v44, v129, 4
	ds_store_b128 v129, v[0:3]
	ds_store_b128 v129, v[40:43] offset:864
	ds_store_b128 v129, v[236:239] offset:1728
	;; [unrolled: 1-line block ×6, first 2 shown]
	s_clause 0x1
	scratch_load_b32 v0, off, off offset:544 th:TH_LOAD_LU
	scratch_load_b32 v1, off, off offset:540 th:TH_LOAD_LU
	s_wait_loadcnt 0x1
	v_and_b32_e32 v0, 0xffff, v0
	s_delay_alu instid0(VALU_DEP_1) | instskip(SKIP_1) | instid1(VALU_DEP_1)
	v_mul_u32_u24_e32 v0, 0x17a, v0
	s_wait_loadcnt 0x0
	v_add_lshl_u32 v240, v0, v1, 4
	ds_store_b128 v240, v[8:11]
	ds_store_b128 v240, v[36:39] offset:864
	ds_store_b128 v240, v[220:223] offset:1728
	;; [unrolled: 1-line block ×6, first 2 shown]
	s_and_saveexec_b32 s1, s0
	s_cbranch_execz .LBB0_11
; %bb.10:
	v_lshlrev_b32_e32 v0, 4, v246
	ds_store_b128 v0, v[4:7] offset:24192
	ds_store_b128 v0, v[28:31] offset:25056
	scratch_load_b128 v[1:4], off, off offset:40 ; 16-byte Folded Reload
	s_wait_loadcnt 0x0
	ds_store_b128 v0, v[1:4] offset:25920
	scratch_load_b128 v[1:4], off, off offset:8 ; 16-byte Folded Reload
	s_wait_loadcnt 0x0
	;; [unrolled: 3-line block ×5, first 2 shown]
	ds_store_b128 v0, v[1:4] offset:29376
.LBB0_11:
	s_wait_alu 0xfffe
	s_or_b32 exec_lo, exec_lo, s1
	scratch_load_b32 v245, off, off offset:248 ; 4-byte Folded Reload
	global_wb scope:SCOPE_SE
	s_wait_loadcnt_dscnt 0x0
	s_barrier_signal -1
	s_barrier_wait -1
	global_inv scope:SCOPE_SE
	v_lshlrev_b32_e32 v12, 6, v130
	s_mov_b32 s12, 0x134454ff
	s_mov_b32 s13, 0x3fee6f0e
	;; [unrolled: 1-line block ×3, first 2 shown]
	s_wait_alu 0xfffe
	s_mov_b32 s14, s12
	s_mov_b32 s11, 0xbfe2cf23
	;; [unrolled: 1-line block ×4, first 2 shown]
	v_lshlrev_b32_e32 v0, 6, v245
	s_clause 0x5
	global_load_b128 v[220:223], v0, s[2:3] offset:6016
	global_load_b128 v[216:219], v0, s[2:3] offset:6032
	;; [unrolled: 1-line block ×6, first 2 shown]
	ds_load_b128 v[4:7], v128 offset:6048
	ds_load_b128 v[32:35], v128 offset:4032
	;; [unrolled: 1-line block ×6, first 2 shown]
	s_wait_loadcnt_dscnt 0x505
	v_mul_f64_e32 v[25:26], v[6:7], v[222:223]
	v_mul_f64_e32 v[36:37], v[4:5], v[222:223]
	s_wait_loadcnt_dscnt 0x403
	v_mul_f64_e32 v[38:39], v[10:11], v[218:219]
	v_mul_f64_e32 v[40:41], v[8:9], v[218:219]
	s_wait_loadcnt_dscnt 0x302
	v_mul_f64_e32 v[42:43], v[15:16], v[238:239]
	v_mul_f64_e32 v[44:45], v[13:14], v[238:239]
	v_fma_f64 v[52:53], v[4:5], v[220:221], -v[25:26]
	v_fma_f64 v[54:55], v[6:7], v[220:221], v[36:37]
	ds_load_b128 v[4:7], v128 offset:24192
	v_fma_f64 v[64:65], v[8:9], v[216:217], -v[38:39]
	v_fma_f64 v[66:67], v[10:11], v[216:217], v[40:41]
	ds_load_b128 v[36:39], v128 offset:26208
	v_fma_f64 v[72:73], v[13:14], v[236:237], -v[42:43]
	v_fma_f64 v[74:75], v[15:16], v[236:237], v[44:45]
	s_wait_loadcnt_dscnt 0x201
	v_mul_f64_e32 v[8:9], v[6:7], v[250:251]
	v_mul_f64_e32 v[10:11], v[4:5], v[250:251]
	s_delay_alu instid0(VALU_DEP_4) | instskip(NEXT) | instid1(VALU_DEP_4)
	v_add_f64_e64 v[106:107], v[64:65], -v[72:73]
	v_add_f64_e64 v[86:87], v[66:67], -v[74:75]
	s_delay_alu instid0(VALU_DEP_4) | instskip(NEXT) | instid1(VALU_DEP_4)
	v_fma_f64 v[76:77], v[4:5], v[248:249], -v[8:9]
	v_fma_f64 v[78:79], v[6:7], v[248:249], v[10:11]
	ds_load_b128 v[4:7], v128 offset:8064
	ds_load_b128 v[40:43], v128 offset:10080
	s_wait_loadcnt_dscnt 0x101
	v_mul_f64_e32 v[8:9], v[6:7], v[254:255]
	v_add_f64_e64 v[104:105], v[52:53], -v[76:77]
	v_add_f64_e64 v[84:85], v[54:55], -v[78:79]
	s_delay_alu instid0(VALU_DEP_3) | instskip(SKIP_1) | instid1(VALU_DEP_1)
	v_fma_f64 v[88:89], v[4:5], v[252:253], -v[8:9]
	v_mul_f64_e32 v[4:5], v[4:5], v[254:255]
	v_fma_f64 v[90:91], v[6:7], v[252:253], v[4:5]
	s_wait_loadcnt 0x0
	v_mul_f64_e32 v[4:5], v[19:20], v[2:3]
	s_delay_alu instid0(VALU_DEP_1) | instskip(SKIP_1) | instid1(VALU_DEP_1)
	v_fma_f64 v[92:93], v[17:18], v[0:1], -v[4:5]
	v_mul_f64_e32 v[4:5], v[17:18], v[2:3]
	v_fma_f64 v[94:95], v[19:20], v[0:1], v[4:5]
	s_clause 0x1
	global_load_b128 v[8:11], v12, s[2:3] offset:6048
	global_load_b128 v[4:7], v12, s[2:3] offset:6064
	ds_load_b128 v[12:15], v128 offset:20160
	ds_load_b128 v[44:47], v128 offset:22176
	s_wait_loadcnt_dscnt 0x101
	v_mul_f64_e32 v[16:17], v[14:15], v[10:11]
	s_delay_alu instid0(VALU_DEP_1) | instskip(SKIP_1) | instid1(VALU_DEP_2)
	v_fma_f64 v[96:97], v[12:13], v[8:9], -v[16:17]
	v_mul_f64_e32 v[12:13], v[12:13], v[10:11]
	v_add_f64_e64 v[226:227], v[92:93], -v[96:97]
	s_delay_alu instid0(VALU_DEP_2) | instskip(SKIP_2) | instid1(VALU_DEP_1)
	v_fma_f64 v[98:99], v[14:15], v[8:9], v[12:13]
	s_wait_loadcnt 0x0
	v_mul_f64_e32 v[12:13], v[38:39], v[6:7]
	v_fma_f64 v[100:101], v[36:37], v[4:5], -v[12:13]
	v_mul_f64_e32 v[12:13], v[36:37], v[6:7]
	v_lshlrev_b32_e32 v36, 6, v131
	s_delay_alu instid0(VALU_DEP_3) | instskip(NEXT) | instid1(VALU_DEP_3)
	v_add_f64_e64 v[224:225], v[88:89], -v[100:101]
	v_fma_f64 v[102:103], v[38:39], v[4:5], v[12:13]
	s_clause 0x1
	global_load_b128 v[16:19], v36, s[2:3] offset:6016
	global_load_b128 v[12:15], v36, s[2:3] offset:6032
	s_wait_loadcnt 0x1
	v_mul_f64_e32 v[25:26], v[42:43], v[18:19]
	s_delay_alu instid0(VALU_DEP_1) | instskip(SKIP_1) | instid1(VALU_DEP_1)
	v_fma_f64 v[108:109], v[40:41], v[16:17], -v[25:26]
	v_mul_f64_e32 v[25:26], v[40:41], v[18:19]
	v_fma_f64 v[110:111], v[42:43], v[16:17], v[25:26]
	s_wait_loadcnt 0x0
	v_mul_f64_e32 v[25:26], v[23:24], v[14:15]
	s_delay_alu instid0(VALU_DEP_1) | instskip(SKIP_1) | instid1(VALU_DEP_1)
	v_fma_f64 v[112:113], v[21:22], v[12:13], -v[25:26]
	v_mul_f64_e32 v[20:21], v[21:22], v[14:15]
	v_fma_f64 v[114:115], v[23:24], v[12:13], v[20:21]
	s_clause 0x1
	global_load_b128 v[24:27], v36, s[2:3] offset:6048
	global_load_b128 v[20:23], v36, s[2:3] offset:6064
	s_mov_b32 s2, 0x4755a5e
	s_mov_b32 s3, 0x3fe2cf23
	s_wait_alu 0xfffe
	s_mov_b32 s10, s2
	s_wait_loadcnt_dscnt 0x100
	v_mul_f64_e32 v[36:37], v[46:47], v[26:27]
	s_delay_alu instid0(VALU_DEP_1) | instskip(SKIP_2) | instid1(VALU_DEP_3)
	v_fma_f64 v[116:117], v[44:45], v[24:25], -v[36:37]
	v_mul_f64_e32 v[36:37], v[44:45], v[26:27]
	v_add_f64_e32 v[44:45], v[64:65], v[72:73]
	v_add_f64_e64 v[230:231], v[112:113], -v[116:117]
	s_delay_alu instid0(VALU_DEP_3) | instskip(SKIP_3) | instid1(VALU_DEP_1)
	v_fma_f64 v[118:119], v[46:47], v[24:25], v[36:37]
	ds_load_b128 v[36:39], v128 offset:28224
	s_wait_loadcnt_dscnt 0x0
	v_mul_f64_e32 v[40:41], v[38:39], v[22:23]
	v_fma_f64 v[130:131], v[36:37], v[20:21], -v[40:41]
	v_mul_f64_e32 v[36:37], v[36:37], v[22:23]
	s_delay_alu instid0(VALU_DEP_2) | instskip(NEXT) | instid1(VALU_DEP_2)
	v_add_f64_e64 v[232:233], v[108:109], -v[130:131]
	v_fma_f64 v[228:229], v[38:39], v[20:21], v[36:37]
	v_add_f64_e64 v[36:37], v[52:53], -v[64:65]
	v_add_f64_e64 v[38:39], v[76:77], -v[72:73]
	s_delay_alu instid0(VALU_DEP_1) | instskip(SKIP_2) | instid1(VALU_DEP_1)
	v_add_f64_e32 v[48:49], v[36:37], v[38:39]
	v_add_f64_e64 v[36:37], v[54:55], -v[66:67]
	v_add_f64_e64 v[38:39], v[78:79], -v[74:75]
	v_add_f64_e32 v[50:51], v[36:37], v[38:39]
	ds_load_b128 v[36:39], v128
	ds_load_b128 v[40:43], v128 offset:2016
	s_wait_dscnt 0x1
	v_fma_f64 v[80:81], v[44:45], -0.5, v[36:37]
	v_add_f64_e32 v[44:45], v[66:67], v[74:75]
	s_delay_alu instid0(VALU_DEP_1) | instskip(NEXT) | instid1(VALU_DEP_3)
	v_fma_f64 v[82:83], v[44:45], -0.5, v[38:39]
	v_fma_f64 v[44:45], v[84:85], s[12:13], v[80:81]
	v_fma_f64 v[80:81], v[84:85], s[14:15], v[80:81]
	s_delay_alu instid0(VALU_DEP_3) | instskip(SKIP_1) | instid1(VALU_DEP_4)
	v_fma_f64 v[46:47], v[104:105], s[14:15], v[82:83]
	v_fma_f64 v[82:83], v[104:105], s[12:13], v[82:83]
	;; [unrolled: 1-line block ×3, first 2 shown]
	s_wait_alu 0xfffe
	s_delay_alu instid0(VALU_DEP_4) | instskip(NEXT) | instid1(VALU_DEP_4)
	v_fma_f64 v[80:81], v[86:87], s[10:11], v[80:81]
	v_fma_f64 v[46:47], v[106:107], s[10:11], v[46:47]
	s_delay_alu instid0(VALU_DEP_4) | instskip(NEXT) | instid1(VALU_DEP_4)
	v_fma_f64 v[82:83], v[106:107], s[2:3], v[82:83]
	v_fma_f64 v[44:45], v[48:49], s[18:19], v[44:45]
	s_delay_alu instid0(VALU_DEP_4) | instskip(SKIP_4) | instid1(VALU_DEP_4)
	v_fma_f64 v[48:49], v[48:49], s[18:19], v[80:81]
	v_add_f64_e32 v[80:81], v[52:53], v[76:77]
	v_fma_f64 v[46:47], v[50:51], s[18:19], v[46:47]
	v_fma_f64 v[50:51], v[50:51], s[18:19], v[82:83]
	v_add_f64_e32 v[82:83], v[54:55], v[78:79]
	v_fma_f64 v[80:81], v[80:81], -0.5, v[36:37]
	v_add_f64_e32 v[36:37], v[36:37], v[52:53]
	v_add_f64_e64 v[52:53], v[64:65], -v[52:53]
	s_delay_alu instid0(VALU_DEP_4) | instskip(SKIP_4) | instid1(VALU_DEP_4)
	v_fma_f64 v[82:83], v[82:83], -0.5, v[38:39]
	v_add_f64_e32 v[38:39], v[38:39], v[54:55]
	v_add_f64_e64 v[54:55], v[66:67], -v[54:55]
	v_add_f64_e32 v[36:37], v[36:37], v[64:65]
	v_add_f64_e64 v[64:65], v[72:73], -v[76:77]
	;; [unrolled: 2-line block ×3, first 2 shown]
	s_delay_alu instid0(VALU_DEP_4)
	v_add_f64_e32 v[36:37], v[36:37], v[72:73]
	v_fma_f64 v[72:73], v[86:87], s[14:15], v[80:81]
	v_add_f64_e32 v[64:65], v[52:53], v[64:65]
	v_add_f64_e32 v[38:39], v[38:39], v[74:75]
	v_fma_f64 v[74:75], v[86:87], s[12:13], v[80:81]
	v_add_f64_e32 v[36:37], v[36:37], v[76:77]
	v_fma_f64 v[76:77], v[106:107], s[12:13], v[82:83]
	;; [unrolled: 2-line block ×4, first 2 shown]
	v_fma_f64 v[72:73], v[84:85], s[10:11], v[74:75]
	v_fma_f64 v[54:55], v[104:105], s[10:11], v[76:77]
	v_add_f64_e64 v[76:77], v[102:103], -v[98:99]
	v_fma_f64 v[52:53], v[64:65], s[18:19], v[52:53]
	v_add_f64_e64 v[106:107], v[94:95], -v[98:99]
	v_fma_f64 v[74:75], v[104:105], s[2:3], v[78:79]
	v_fma_f64 v[64:65], v[64:65], s[18:19], v[72:73]
	;; [unrolled: 1-line block ×3, first 2 shown]
	v_add_f64_e64 v[72:73], v[88:89], -v[92:93]
	v_add_f64_e32 v[78:79], v[94:95], v[98:99]
	v_add_f64_e64 v[104:105], v[90:91], -v[102:103]
	v_fma_f64 v[66:67], v[66:67], s[18:19], v[74:75]
	v_add_f64_e64 v[74:75], v[100:101], -v[96:97]
	s_wait_dscnt 0x0
	s_delay_alu instid0(VALU_DEP_4) | instskip(NEXT) | instid1(VALU_DEP_2)
	v_fma_f64 v[78:79], v[78:79], -0.5, v[42:43]
	v_add_f64_e32 v[72:73], v[72:73], v[74:75]
	v_add_f64_e64 v[74:75], v[90:91], -v[94:95]
	s_delay_alu instid0(VALU_DEP_3) | instskip(SKIP_1) | instid1(VALU_DEP_3)
	v_fma_f64 v[82:83], v[224:225], s[14:15], v[78:79]
	v_fma_f64 v[78:79], v[224:225], s[12:13], v[78:79]
	v_add_f64_e32 v[74:75], v[74:75], v[76:77]
	v_add_f64_e32 v[76:77], v[92:93], v[96:97]
	s_delay_alu instid0(VALU_DEP_4) | instskip(NEXT) | instid1(VALU_DEP_4)
	v_fma_f64 v[82:83], v[226:227], s[10:11], v[82:83]
	v_fma_f64 v[78:79], v[226:227], s[2:3], v[78:79]
	s_delay_alu instid0(VALU_DEP_3) | instskip(NEXT) | instid1(VALU_DEP_3)
	v_fma_f64 v[76:77], v[76:77], -0.5, v[40:41]
	v_fma_f64 v[82:83], v[74:75], s[18:19], v[82:83]
	s_delay_alu instid0(VALU_DEP_3) | instskip(SKIP_4) | instid1(VALU_DEP_4)
	v_fma_f64 v[86:87], v[74:75], s[18:19], v[78:79]
	v_add_f64_e32 v[74:75], v[90:91], v[102:103]
	v_add_f64_e64 v[78:79], v[94:95], -v[90:91]
	v_fma_f64 v[80:81], v[104:105], s[12:13], v[76:77]
	v_fma_f64 v[76:77], v[104:105], s[14:15], v[76:77]
	v_fma_f64 v[74:75], v[74:75], -0.5, v[42:43]
	v_add_f64_e32 v[42:43], v[42:43], v[90:91]
	v_add_f64_e64 v[90:91], v[98:99], -v[102:103]
	v_fma_f64 v[80:81], v[106:107], s[2:3], v[80:81]
	v_fma_f64 v[76:77], v[106:107], s[10:11], v[76:77]
	s_delay_alu instid0(VALU_DEP_4)
	v_add_f64_e32 v[42:43], v[42:43], v[94:95]
	v_fma_f64 v[94:95], v[226:227], s[12:13], v[74:75]
	v_fma_f64 v[74:75], v[226:227], s[14:15], v[74:75]
	v_add_f64_e32 v[78:79], v[78:79], v[90:91]
	v_fma_f64 v[80:81], v[72:73], s[18:19], v[80:81]
	v_fma_f64 v[84:85], v[72:73], s[18:19], v[76:77]
	v_add_f64_e32 v[72:73], v[88:89], v[100:101]
	v_add_f64_e64 v[76:77], v[92:93], -v[88:89]
	v_add_f64_e32 v[42:43], v[42:43], v[98:99]
	v_fma_f64 v[90:91], v[224:225], s[10:11], v[94:95]
	v_fma_f64 v[74:75], v[224:225], s[2:3], v[74:75]
	v_add_f64_e64 v[98:99], v[110:111], -v[228:229]
	v_fma_f64 v[72:73], v[72:73], -0.5, v[40:41]
	v_add_f64_e32 v[40:41], v[40:41], v[88:89]
	v_add_f64_e64 v[88:89], v[96:97], -v[100:101]
	v_fma_f64 v[90:91], v[78:79], s[18:19], v[90:91]
	v_fma_f64 v[94:95], v[78:79], s[18:19], v[74:75]
	v_add_f64_e64 v[74:75], v[116:117], -v[130:131]
	v_add_f64_e32 v[78:79], v[110:111], v[228:229]
	v_add_f64_e32 v[42:43], v[42:43], v[102:103]
	;; [unrolled: 1-line block ×3, first 2 shown]
	v_fma_f64 v[92:93], v[106:107], s[14:15], v[72:73]
	v_fma_f64 v[72:73], v[106:107], s[12:13], v[72:73]
	v_add_f64_e32 v[76:77], v[76:77], v[88:89]
	v_fma_f64 v[78:79], v[78:79], -0.5, v[34:35]
	v_add_f64_e32 v[40:41], v[40:41], v[96:97]
	v_fma_f64 v[88:89], v[104:105], s[2:3], v[92:93]
	v_fma_f64 v[72:73], v[104:105], s[10:11], v[72:73]
	v_add_f64_e64 v[96:97], v[114:115], -v[118:119]
	v_fma_f64 v[102:103], v[230:231], s[12:13], v[78:79]
	v_fma_f64 v[78:79], v[230:231], s[14:15], v[78:79]
	v_add_f64_e32 v[40:41], v[40:41], v[100:101]
	v_fma_f64 v[88:89], v[76:77], s[18:19], v[88:89]
	v_fma_f64 v[92:93], v[76:77], s[18:19], v[72:73]
	v_add_f64_e64 v[72:73], v[112:113], -v[108:109]
	v_add_f64_e64 v[76:77], v[118:119], -v[228:229]
	v_fma_f64 v[102:103], v[232:233], s[10:11], v[102:103]
	v_fma_f64 v[78:79], v[232:233], s[2:3], v[78:79]
	s_delay_alu instid0(VALU_DEP_4) | instskip(SKIP_1) | instid1(VALU_DEP_1)
	v_add_f64_e32 v[72:73], v[72:73], v[74:75]
	v_add_f64_e64 v[74:75], v[114:115], -v[110:111]
	v_add_f64_e32 v[74:75], v[74:75], v[76:77]
	v_add_f64_e32 v[76:77], v[108:109], v[130:131]
	s_delay_alu instid0(VALU_DEP_2) | instskip(NEXT) | instid1(VALU_DEP_2)
	v_fma_f64 v[102:103], v[74:75], s[18:19], v[102:103]
	v_fma_f64 v[76:77], v[76:77], -0.5, v[32:33]
	v_fma_f64 v[106:107], v[74:75], s[18:19], v[78:79]
	v_add_f64_e32 v[74:75], v[114:115], v[118:119]
	v_add_f64_e64 v[78:79], v[110:111], -v[114:115]
	s_delay_alu instid0(VALU_DEP_4) | instskip(SKIP_1) | instid1(VALU_DEP_4)
	v_fma_f64 v[100:101], v[96:97], s[14:15], v[76:77]
	v_fma_f64 v[76:77], v[96:97], s[12:13], v[76:77]
	v_fma_f64 v[74:75], v[74:75], -0.5, v[34:35]
	v_add_f64_e32 v[34:35], v[34:35], v[110:111]
	s_delay_alu instid0(VALU_DEP_4) | instskip(NEXT) | instid1(VALU_DEP_4)
	v_fma_f64 v[100:101], v[98:99], s[2:3], v[100:101]
	v_fma_f64 v[76:77], v[98:99], s[10:11], v[76:77]
	s_delay_alu instid0(VALU_DEP_3) | instskip(NEXT) | instid1(VALU_DEP_3)
	v_add_f64_e32 v[34:35], v[34:35], v[114:115]
	v_fma_f64 v[100:101], v[72:73], s[18:19], v[100:101]
	s_delay_alu instid0(VALU_DEP_3) | instskip(SKIP_1) | instid1(VALU_DEP_4)
	v_fma_f64 v[104:105], v[72:73], s[18:19], v[76:77]
	v_add_f64_e32 v[72:73], v[112:113], v[116:117]
	v_add_f64_e32 v[34:35], v[34:35], v[118:119]
	v_add_f64_e64 v[76:77], v[108:109], -v[112:113]
	s_delay_alu instid0(VALU_DEP_3) | instskip(SKIP_3) | instid1(VALU_DEP_4)
	v_fma_f64 v[72:73], v[72:73], -0.5, v[32:33]
	v_add_f64_e32 v[32:33], v[32:33], v[108:109]
	v_add_f64_e64 v[108:109], v[130:131], -v[116:117]
	v_add_f64_e32 v[226:227], v[34:35], v[228:229]
	v_fma_f64 v[34:35], v[98:99], s[12:13], v[72:73]
	s_delay_alu instid0(VALU_DEP_4)
	v_add_f64_e32 v[32:33], v[32:33], v[112:113]
	v_fma_f64 v[72:73], v[98:99], s[14:15], v[72:73]
	v_fma_f64 v[98:99], v[232:233], s[14:15], v[74:75]
	;; [unrolled: 1-line block ×3, first 2 shown]
	v_add_f64_e32 v[76:77], v[76:77], v[108:109]
	v_add_f64_e32 v[32:33], v[32:33], v[116:117]
	s_delay_alu instid0(VALU_DEP_3) | instskip(NEXT) | instid1(VALU_DEP_2)
	v_fma_f64 v[74:75], v[230:231], s[2:3], v[74:75]
	v_add_f64_e32 v[224:225], v[32:33], v[130:131]
	v_add_f64_e64 v[32:33], v[228:229], -v[118:119]
	s_delay_alu instid0(VALU_DEP_1) | instskip(SKIP_4) | instid1(VALU_DEP_3)
	v_add_f64_e32 v[78:79], v[78:79], v[32:33]
	v_fma_f64 v[32:33], v[96:97], s[2:3], v[34:35]
	v_fma_f64 v[34:35], v[96:97], s[10:11], v[72:73]
	;; [unrolled: 1-line block ×3, first 2 shown]
	s_add_nc_u64 s[2:3], s[16:17], 0x7620
	v_fma_f64 v[228:229], v[76:77], s[18:19], v[32:33]
	s_delay_alu instid0(VALU_DEP_3) | instskip(NEXT) | instid1(VALU_DEP_3)
	v_fma_f64 v[32:33], v[76:77], s[18:19], v[34:35]
	v_fma_f64 v[230:231], v[78:79], s[18:19], v[72:73]
	;; [unrolled: 1-line block ×3, first 2 shown]
	ds_store_b128 v128, v[36:39]
	ds_store_b128 v128, v[40:43] offset:2016
	ds_store_b128 v128, v[52:55] offset:12096
	;; [unrolled: 1-line block ×14, first 2 shown]
	global_wb scope:SCOPE_SE
	s_wait_dscnt 0x0
	s_barrier_signal -1
	s_barrier_wait -1
	global_inv scope:SCOPE_SE
	scratch_load_b64 v[36:37], off, off     ; 8-byte Folded Reload
	s_wait_loadcnt 0x0
	global_load_b128 v[36:39], v[36:37], off offset:30240
	ds_load_b128 v[40:43], v128
	ds_load_b128 v[44:47], v128 offset:2016
	ds_load_b128 v[52:55], v128 offset:15120
	ds_load_b128 v[80:83], v128 offset:12096
	global_load_b128 v[64:67], v128, s[2:3] offset:17136
	s_wait_loadcnt_dscnt 0x103
	v_mul_f64_e32 v[48:49], v[42:43], v[38:39]
	v_mul_f64_e32 v[50:51], v[40:41], v[38:39]
	s_delay_alu instid0(VALU_DEP_2) | instskip(NEXT) | instid1(VALU_DEP_2)
	v_fma_f64 v[38:39], v[40:41], v[36:37], -v[48:49]
	v_fma_f64 v[40:41], v[42:43], v[36:37], v[50:51]
	s_clause 0x2
	global_load_b128 v[48:51], v128, s[2:3] offset:15120
	global_load_b128 v[84:87], v128, s[2:3] offset:2016
	;; [unrolled: 1-line block ×3, first 2 shown]
	s_wait_loadcnt_dscnt 0x201
	v_mul_f64_e32 v[36:37], v[54:55], v[50:51]
	v_mul_f64_e32 v[42:43], v[52:53], v[50:51]
	s_delay_alu instid0(VALU_DEP_2) | instskip(NEXT) | instid1(VALU_DEP_2)
	v_fma_f64 v[50:51], v[52:53], v[48:49], -v[36:37]
	v_fma_f64 v[52:53], v[54:55], v[48:49], v[42:43]
	s_wait_loadcnt 0x1
	v_mul_f64_e32 v[36:37], v[46:47], v[86:87]
	v_mul_f64_e32 v[48:49], v[44:45], v[86:87]
	s_delay_alu instid0(VALU_DEP_2) | instskip(NEXT) | instid1(VALU_DEP_2)
	v_fma_f64 v[42:43], v[44:45], v[84:85], -v[36:37]
	v_fma_f64 v[44:45], v[46:47], v[84:85], v[48:49]
	ds_load_b128 v[46:49], v128 offset:17136
	ds_load_b128 v[84:87], v128 offset:19152
	s_wait_dscnt 0x1
	v_mul_f64_e32 v[36:37], v[48:49], v[66:67]
	v_mul_f64_e32 v[54:55], v[46:47], v[66:67]
	s_delay_alu instid0(VALU_DEP_2) | instskip(NEXT) | instid1(VALU_DEP_2)
	v_fma_f64 v[46:47], v[46:47], v[64:65], -v[36:37]
	v_fma_f64 v[48:49], v[48:49], v[64:65], v[54:55]
	ds_load_b128 v[64:67], v128 offset:4032
	ds_load_b128 v[92:95], v128 offset:6048
	s_wait_loadcnt_dscnt 0x1
	v_mul_f64_e32 v[36:37], v[66:67], v[90:91]
	v_mul_f64_e32 v[54:55], v[64:65], v[90:91]
	s_delay_alu instid0(VALU_DEP_2) | instskip(NEXT) | instid1(VALU_DEP_2)
	v_fma_f64 v[64:65], v[64:65], v[88:89], -v[36:37]
	v_fma_f64 v[66:67], v[66:67], v[88:89], v[54:55]
	s_clause 0x1
	global_load_b128 v[88:91], v128, s[2:3] offset:19152
	global_load_b128 v[100:103], v128, s[2:3] offset:21168
	s_wait_loadcnt 0x1
	v_mul_f64_e32 v[36:37], v[86:87], v[90:91]
	v_mul_f64_e32 v[54:55], v[84:85], v[90:91]
	s_delay_alu instid0(VALU_DEP_2) | instskip(NEXT) | instid1(VALU_DEP_2)
	v_fma_f64 v[84:85], v[84:85], v[88:89], -v[36:37]
	v_fma_f64 v[86:87], v[86:87], v[88:89], v[54:55]
	s_clause 0x1
	global_load_b128 v[88:91], v128, s[2:3] offset:6048
	global_load_b128 v[104:107], v128, s[2:3] offset:8064
	ds_load_b128 v[224:227], v128 offset:21168
	ds_load_b128 v[228:231], v128 offset:23184
	s_wait_loadcnt_dscnt 0x102
	v_mul_f64_e32 v[36:37], v[94:95], v[90:91]
	v_mul_f64_e32 v[54:55], v[92:93], v[90:91]
	s_delay_alu instid0(VALU_DEP_2) | instskip(NEXT) | instid1(VALU_DEP_2)
	v_fma_f64 v[90:91], v[92:93], v[88:89], -v[36:37]
	v_fma_f64 v[92:93], v[94:95], v[88:89], v[54:55]
	s_wait_dscnt 0x1
	v_mul_f64_e32 v[36:37], v[226:227], v[102:103]
	v_mul_f64_e32 v[54:55], v[224:225], v[102:103]
	s_delay_alu instid0(VALU_DEP_2) | instskip(NEXT) | instid1(VALU_DEP_2)
	v_fma_f64 v[224:225], v[224:225], v[100:101], -v[36:37]
	v_fma_f64 v[226:227], v[226:227], v[100:101], v[54:55]
	ds_load_b128 v[100:103], v128 offset:8064
	ds_load_b128 v[232:235], v128 offset:10080
	s_wait_loadcnt_dscnt 0x1
	v_mul_f64_e32 v[36:37], v[102:103], v[106:107]
	v_mul_f64_e32 v[54:55], v[100:101], v[106:107]
	s_delay_alu instid0(VALU_DEP_2) | instskip(NEXT) | instid1(VALU_DEP_2)
	v_fma_f64 v[100:101], v[100:101], v[104:105], -v[36:37]
	v_fma_f64 v[102:103], v[102:103], v[104:105], v[54:55]
	s_clause 0x1
	global_load_b128 v[104:107], v128, s[2:3] offset:23184
	global_load_b128 v[241:244], v128, s[2:3] offset:25200
	s_wait_loadcnt 0x1
	v_mul_f64_e32 v[36:37], v[230:231], v[106:107]
	v_mul_f64_e32 v[54:55], v[228:229], v[106:107]
	s_delay_alu instid0(VALU_DEP_2) | instskip(NEXT) | instid1(VALU_DEP_2)
	v_fma_f64 v[228:229], v[228:229], v[104:105], -v[36:37]
	v_fma_f64 v[230:231], v[230:231], v[104:105], v[54:55]
	s_clause 0x1
	global_load_b128 v[104:107], v128, s[2:3] offset:10080
	global_load_b128 v[72:75], v128, s[2:3] offset:12096
	s_wait_loadcnt_dscnt 0x100
	v_mul_f64_e32 v[36:37], v[234:235], v[106:107]
	v_mul_f64_e32 v[54:55], v[232:233], v[106:107]
	s_delay_alu instid0(VALU_DEP_2) | instskip(NEXT) | instid1(VALU_DEP_2)
	v_fma_f64 v[232:233], v[232:233], v[104:105], -v[36:37]
	v_fma_f64 v[234:235], v[234:235], v[104:105], v[54:55]
	ds_load_b128 v[104:107], v128 offset:25200
	ds_load_b128 v[76:79], v128 offset:27216
	s_wait_dscnt 0x1
	v_mul_f64_e32 v[36:37], v[106:107], v[243:244]
	v_mul_f64_e32 v[54:55], v[104:105], v[243:244]
	s_delay_alu instid0(VALU_DEP_2) | instskip(NEXT) | instid1(VALU_DEP_2)
	v_fma_f64 v[104:105], v[104:105], v[241:242], -v[36:37]
	v_fma_f64 v[106:107], v[106:107], v[241:242], v[54:55]
	s_wait_loadcnt 0x0
	v_mul_f64_e32 v[36:37], v[82:83], v[74:75]
	v_mul_f64_e32 v[54:55], v[80:81], v[74:75]
	s_delay_alu instid0(VALU_DEP_2) | instskip(NEXT) | instid1(VALU_DEP_2)
	v_fma_f64 v[80:81], v[80:81], v[72:73], -v[36:37]
	v_fma_f64 v[82:83], v[82:83], v[72:73], v[54:55]
	global_load_b128 v[72:75], v128, s[2:3] offset:27216
	s_wait_loadcnt_dscnt 0x0
	v_mul_f64_e32 v[36:37], v[78:79], v[74:75]
	v_mul_f64_e32 v[54:55], v[76:77], v[74:75]
	s_delay_alu instid0(VALU_DEP_2) | instskip(NEXT) | instid1(VALU_DEP_2)
	v_fma_f64 v[74:75], v[76:77], v[72:73], -v[36:37]
	v_fma_f64 v[76:77], v[78:79], v[72:73], v[54:55]
	ds_store_b128 v128, v[38:41]
	ds_store_b128 v128, v[42:45] offset:2016
	ds_store_b128 v128, v[46:49] offset:17136
	;; [unrolled: 1-line block ×13, first 2 shown]
	s_and_saveexec_b32 s1, vcc_lo
	s_cbranch_execz .LBB0_13
; %bb.12:
	s_wait_alu 0xfffe
	v_add_co_u32 v40, s2, s2, v128
	s_wait_alu 0xf1ff
	v_add_co_ci_u32_e64 v41, null, s3, 0, s2
	s_clause 0x1
	global_load_b128 v[36:39], v[40:41], off offset:14112
	global_load_b128 v[40:43], v[40:41], off offset:29232
	ds_load_b128 v[44:47], v128 offset:14112
	ds_load_b128 v[48:51], v128 offset:29232
	s_wait_loadcnt_dscnt 0x101
	v_mul_f64_e32 v[52:53], v[46:47], v[38:39]
	v_mul_f64_e32 v[38:39], v[44:45], v[38:39]
	s_wait_loadcnt_dscnt 0x0
	v_mul_f64_e32 v[54:55], v[50:51], v[42:43]
	v_mul_f64_e32 v[64:65], v[48:49], v[42:43]
	s_delay_alu instid0(VALU_DEP_4) | instskip(NEXT) | instid1(VALU_DEP_4)
	v_fma_f64 v[42:43], v[44:45], v[36:37], -v[52:53]
	v_fma_f64 v[44:45], v[46:47], v[36:37], v[38:39]
	s_delay_alu instid0(VALU_DEP_4) | instskip(NEXT) | instid1(VALU_DEP_4)
	v_fma_f64 v[36:37], v[48:49], v[40:41], -v[54:55]
	v_fma_f64 v[38:39], v[50:51], v[40:41], v[64:65]
	ds_store_b128 v128, v[42:45] offset:14112
	ds_store_b128 v128, v[36:39] offset:29232
.LBB0_13:
	s_wait_alu 0xfffe
	s_or_b32 exec_lo, exec_lo, s1
	global_wb scope:SCOPE_SE
	s_wait_dscnt 0x0
	s_barrier_signal -1
	s_barrier_wait -1
	global_inv scope:SCOPE_SE
	ds_load_b128 v[40:43], v128
	ds_load_b128 v[44:47], v128 offset:2016
	ds_load_b128 v[228:231], v128 offset:17136
	;; [unrolled: 1-line block ×13, first 2 shown]
	scratch_load_b32 v64, off, off offset:412 th:TH_LOAD_LU ; 4-byte Folded Reload
	s_wait_loadcnt 0x0
	v_add_nc_u32_e32 v65, 0x4ec0, v64
	v_add_nc_u32_e32 v64, 0x5e80, v64
	s_and_saveexec_b32 s1, vcc_lo
	s_cbranch_execz .LBB0_15
; %bb.14:
	ds_load_b128 v[32:35], v128 offset:14112
	ds_load_b128 v[28:31], v128 offset:29232
.LBB0_15:
	s_wait_alu 0xfffe
	s_or_b32 exec_lo, exec_lo, s1
	global_wb scope:SCOPE_SE
	s_wait_dscnt 0x0
	s_barrier_signal -1
	s_barrier_wait -1
	global_inv scope:SCOPE_SE
	scratch_load_b32 v66, off, off offset:328 th:TH_LOAD_LU ; 4-byte Folded Reload
	v_add_f64_e64 v[72:73], v[40:41], -v[232:233]
	v_add_f64_e64 v[74:75], v[42:43], -v[234:235]
	v_add_f64_e64 v[76:77], v[44:45], -v[228:229]
	v_add_f64_e64 v[78:79], v[46:47], -v[230:231]
	v_add_f64_e64 v[224:225], v[52:53], -v[224:225]
	v_add_f64_e64 v[226:227], v[54:55], -v[226:227]
	v_add_f64_e64 v[104:105], v[48:49], -v[104:105]
	v_add_f64_e64 v[106:107], v[50:51], -v[106:107]
	v_add_f64_e64 v[100:101], v[84:85], -v[100:101]
	v_add_f64_e64 v[102:103], v[86:87], -v[102:103]
	v_add_f64_e64 v[92:93], v[80:81], -v[92:93]
	v_add_f64_e64 v[94:95], v[82:83], -v[94:95]
	v_add_f64_e64 v[88:89], v[36:37], -v[88:89]
	v_add_f64_e64 v[90:91], v[38:39], -v[90:91]
	v_add_f64_e64 v[28:29], v[32:33], -v[28:29]
	v_add_f64_e64 v[30:31], v[34:35], -v[30:31]
	v_fma_f64 v[40:41], v[40:41], 2.0, -v[72:73]
	v_fma_f64 v[42:43], v[42:43], 2.0, -v[74:75]
	v_fma_f64 v[44:45], v[44:45], 2.0, -v[76:77]
	v_fma_f64 v[46:47], v[46:47], 2.0, -v[78:79]
	v_fma_f64 v[52:53], v[52:53], 2.0, -v[224:225]
	v_fma_f64 v[54:55], v[54:55], 2.0, -v[226:227]
	v_fma_f64 v[48:49], v[48:49], 2.0, -v[104:105]
	v_fma_f64 v[50:51], v[50:51], 2.0, -v[106:107]
	v_fma_f64 v[84:85], v[84:85], 2.0, -v[100:101]
	v_fma_f64 v[86:87], v[86:87], 2.0, -v[102:103]
	v_fma_f64 v[80:81], v[80:81], 2.0, -v[92:93]
	v_fma_f64 v[82:83], v[82:83], 2.0, -v[94:95]
	v_fma_f64 v[36:37], v[36:37], 2.0, -v[88:89]
	v_fma_f64 v[38:39], v[38:39], 2.0, -v[90:91]
	s_wait_loadcnt 0x0
	ds_store_b128 v66, v[72:75] offset:16
	ds_store_b128 v66, v[40:43]
	scratch_load_b32 v40, off, off offset:324 th:TH_LOAD_LU ; 4-byte Folded Reload
	s_wait_loadcnt 0x0
	ds_store_b128 v40, v[76:79] offset:16
	ds_store_b128 v40, v[44:47]
	scratch_load_b32 v40, off, off offset:332 th:TH_LOAD_LU ; 4-byte Folded Reload
	;; [unrolled: 4-line block ×4, first 2 shown]
	s_wait_loadcnt 0x0
	ds_store_b128 v40, v[100:103] offset:16
	ds_store_b128 v40, v[84:87]
	ds_store_b128 v65, v[92:95] offset:16
	ds_store_b128 v65, v[80:83]
	ds_store_b128 v64, v[36:39]
	ds_store_b128 v64, v[88:91] offset:16
	s_and_saveexec_b32 s1, vcc_lo
	s_cbranch_execz .LBB0_17
; %bb.16:
	scratch_load_b32 v36, off, off offset:340 th:TH_LOAD_LU ; 4-byte Folded Reload
	v_fma_f64 v[34:35], v[34:35], 2.0, -v[30:31]
	v_fma_f64 v[32:33], v[32:33], 2.0, -v[28:29]
	s_wait_loadcnt 0x0
	ds_store_b128 v36, v[32:35]
	ds_store_b128 v36, v[28:31] offset:16
.LBB0_17:
	s_wait_alu 0xfffe
	s_or_b32 exec_lo, exec_lo, s1
	global_wb scope:SCOPE_SE
	s_wait_dscnt 0x0
	s_barrier_signal -1
	s_barrier_wait -1
	global_inv scope:SCOPE_SE
	ds_load_b128 v[32:35], v128 offset:10080
	ds_load_b128 v[36:39], v128 offset:8064
	s_mov_b32 s2, 0xe8584caa
	s_mov_b32 s3, 0xbfebb67a
	;; [unrolled: 1-line block ×3, first 2 shown]
	s_wait_alu 0xfffe
	s_mov_b32 s10, s2
	s_wait_dscnt 0x1
	v_mul_f64_e32 v[40:41], v[62:63], v[34:35]
	s_delay_alu instid0(VALU_DEP_1) | instskip(SKIP_1) | instid1(VALU_DEP_1)
	v_fma_f64 v[44:45], v[60:61], v[32:33], v[40:41]
	v_mul_f64_e32 v[32:33], v[62:63], v[32:33]
	v_fma_f64 v[46:47], v[60:61], v[34:35], -v[32:33]
	ds_load_b128 v[32:35], v128 offset:12096
	ds_load_b128 v[40:43], v128 offset:14112
	s_wait_dscnt 0x1
	v_mul_f64_e32 v[48:49], v[62:63], v[34:35]
	s_delay_alu instid0(VALU_DEP_1) | instskip(SKIP_1) | instid1(VALU_DEP_1)
	v_fma_f64 v[64:65], v[60:61], v[32:33], v[48:49]
	v_mul_f64_e32 v[32:33], v[62:63], v[32:33]
	v_fma_f64 v[66:67], v[60:61], v[34:35], -v[32:33]
	s_wait_dscnt 0x0
	v_mul_f64_e32 v[32:33], v[62:63], v[42:43]
	s_delay_alu instid0(VALU_DEP_1) | instskip(SKIP_1) | instid1(VALU_DEP_1)
	v_fma_f64 v[72:73], v[60:61], v[40:41], v[32:33]
	v_mul_f64_e32 v[32:33], v[62:63], v[40:41]
	v_fma_f64 v[74:75], v[60:61], v[42:43], -v[32:33]
	ds_load_b128 v[32:35], v128 offset:16128
	ds_load_b128 v[40:43], v128 offset:18144
	s_wait_dscnt 0x1
	v_mul_f64_e32 v[48:49], v[62:63], v[34:35]
	s_delay_alu instid0(VALU_DEP_1) | instskip(SKIP_1) | instid1(VALU_DEP_1)
	v_fma_f64 v[76:77], v[60:61], v[32:33], v[48:49]
	v_mul_f64_e32 v[32:33], v[62:63], v[32:33]
	v_fma_f64 v[78:79], v[60:61], v[34:35], -v[32:33]
	;; [unrolled: 14-line block ×3, first 2 shown]
	s_wait_dscnt 0x0
	v_mul_f64_e32 v[32:33], v[58:59], v[42:43]
	s_delay_alu instid0(VALU_DEP_2) | instskip(NEXT) | instid1(VALU_DEP_2)
	v_add_f64_e32 v[54:55], v[46:47], v[50:51]
	v_fma_f64 v[62:63], v[56:57], v[40:41], v[32:33]
	v_mul_f64_e32 v[32:33], v[58:59], v[40:41]
	s_delay_alu instid0(VALU_DEP_1) | instskip(SKIP_4) | instid1(VALU_DEP_1)
	v_fma_f64 v[82:83], v[56:57], v[42:43], -v[32:33]
	ds_load_b128 v[32:35], v128 offset:24192
	ds_load_b128 v[40:43], v128 offset:26208
	s_wait_dscnt 0x1
	v_mul_f64_e32 v[52:53], v[58:59], v[34:35]
	v_fma_f64 v[84:85], v[56:57], v[32:33], v[52:53]
	v_mul_f64_e32 v[32:33], v[58:59], v[32:33]
	v_add_f64_e32 v[52:53], v[44:45], v[48:49]
	s_delay_alu instid0(VALU_DEP_2) | instskip(SKIP_2) | instid1(VALU_DEP_1)
	v_fma_f64 v[86:87], v[56:57], v[34:35], -v[32:33]
	s_wait_dscnt 0x0
	v_mul_f64_e32 v[32:33], v[58:59], v[42:43]
	v_fma_f64 v[88:89], v[56:57], v[40:41], v[32:33]
	v_mul_f64_e32 v[32:33], v[58:59], v[40:41]
	s_delay_alu instid0(VALU_DEP_1) | instskip(SKIP_3) | instid1(VALU_DEP_1)
	v_fma_f64 v[90:91], v[56:57], v[42:43], -v[32:33]
	ds_load_b128 v[32:35], v128 offset:28224
	s_wait_dscnt 0x0
	v_mul_f64_e32 v[40:41], v[58:59], v[34:35]
	v_fma_f64 v[92:93], v[56:57], v[32:33], v[40:41]
	v_mul_f64_e32 v[32:33], v[58:59], v[32:33]
	s_delay_alu instid0(VALU_DEP_1)
	v_fma_f64 v[94:95], v[56:57], v[34:35], -v[32:33]
	ds_load_b128 v[32:35], v128
	ds_load_b128 v[40:43], v128 offset:2016
	s_wait_dscnt 0x1
	v_fma_f64 v[54:55], v[54:55], -0.5, v[34:35]
	v_add_f64_e32 v[34:35], v[34:35], v[46:47]
	v_fma_f64 v[52:53], v[52:53], -0.5, v[32:33]
	v_add_f64_e32 v[32:33], v[32:33], v[44:45]
	v_add_f64_e64 v[46:47], v[46:47], -v[50:51]
	s_delay_alu instid0(VALU_DEP_4) | instskip(SKIP_1) | instid1(VALU_DEP_4)
	v_add_f64_e32 v[34:35], v[34:35], v[50:51]
	v_add_f64_e64 v[50:51], v[44:45], -v[48:49]
	v_add_f64_e32 v[32:33], v[32:33], v[48:49]
	s_delay_alu instid0(VALU_DEP_4) | instskip(SKIP_2) | instid1(VALU_DEP_4)
	v_fma_f64 v[44:45], v[46:47], s[2:3], v[52:53]
	s_wait_alu 0xfffe
	v_fma_f64 v[48:49], v[46:47], s[10:11], v[52:53]
	v_fma_f64 v[46:47], v[50:51], s[10:11], v[54:55]
	;; [unrolled: 1-line block ×3, first 2 shown]
	ds_load_b128 v[52:55], v128 offset:4032
	ds_load_b128 v[56:59], v128 offset:6048
	global_wb scope:SCOPE_SE
	s_wait_dscnt 0x0
	s_barrier_signal -1
	s_barrier_wait -1
	global_inv scope:SCOPE_SE
	scratch_load_b32 v96, off, off offset:456 th:TH_LOAD_LU ; 4-byte Folded Reload
	s_wait_loadcnt 0x0
	ds_store_b128 v96, v[32:35]
	ds_store_b128 v96, v[44:47] offset:32
	ds_store_b128 v96, v[48:51] offset:64
	v_add_f64_e32 v[32:33], v[64:65], v[62:63]
	v_add_f64_e64 v[48:49], v[64:65], -v[62:63]
	s_delay_alu instid0(VALU_DEP_2) | instskip(SKIP_2) | instid1(VALU_DEP_2)
	v_fma_f64 v[44:45], v[32:33], -0.5, v[40:41]
	v_add_f64_e32 v[32:33], v[66:67], v[82:83]
	v_add_f64_e32 v[40:41], v[40:41], v[64:65]
	v_fma_f64 v[46:47], v[32:33], -0.5, v[42:43]
	v_add_f64_e32 v[32:33], v[42:43], v[66:67]
	v_add_f64_e64 v[42:43], v[66:67], -v[82:83]
	s_delay_alu instid0(VALU_DEP_2) | instskip(SKIP_1) | instid1(VALU_DEP_3)
	v_add_f64_e32 v[34:35], v[32:33], v[82:83]
	v_add_f64_e32 v[32:33], v[40:41], v[62:63]
	v_fma_f64 v[40:41], v[42:43], s[2:3], v[44:45]
	v_fma_f64 v[44:45], v[42:43], s[10:11], v[44:45]
	;; [unrolled: 1-line block ×4, first 2 shown]
	scratch_load_b32 v48, off, off offset:464 th:TH_LOAD_LU ; 4-byte Folded Reload
	s_wait_loadcnt 0x0
	ds_store_b128 v48, v[32:35]
	ds_store_b128 v48, v[40:43] offset:32
	ds_store_b128 v48, v[44:47] offset:64
	v_add_f64_e32 v[32:33], v[72:73], v[84:85]
	v_add_f64_e32 v[40:41], v[52:53], v[72:73]
	v_add_f64_e64 v[44:45], v[74:75], -v[86:87]
	v_add_f64_e64 v[48:49], v[72:73], -v[84:85]
	s_delay_alu instid0(VALU_DEP_4) | instskip(SKIP_1) | instid1(VALU_DEP_1)
	v_fma_f64 v[42:43], v[32:33], -0.5, v[52:53]
	v_add_f64_e32 v[32:33], v[74:75], v[86:87]
	v_fma_f64 v[46:47], v[32:33], -0.5, v[54:55]
	v_add_f64_e32 v[32:33], v[54:55], v[74:75]
	s_delay_alu instid0(VALU_DEP_1)
	v_add_f64_e32 v[34:35], v[32:33], v[86:87]
	v_add_f64_e32 v[32:33], v[40:41], v[84:85]
	v_fma_f64 v[40:41], v[44:45], s[2:3], v[42:43]
	v_fma_f64 v[44:45], v[44:45], s[10:11], v[42:43]
	;; [unrolled: 1-line block ×4, first 2 shown]
	scratch_load_b32 v48, off, off offset:460 th:TH_LOAD_LU ; 4-byte Folded Reload
	s_wait_loadcnt 0x0
	ds_store_b128 v48, v[32:35]
	ds_store_b128 v48, v[40:43] offset:32
	ds_store_b128 v48, v[44:47] offset:64
	v_add_f64_e32 v[32:33], v[76:77], v[88:89]
	v_add_f64_e32 v[40:41], v[56:57], v[76:77]
	v_add_f64_e64 v[44:45], v[78:79], -v[90:91]
	v_add_f64_e64 v[48:49], v[76:77], -v[88:89]
	s_delay_alu instid0(VALU_DEP_4) | instskip(SKIP_1) | instid1(VALU_DEP_1)
	v_fma_f64 v[42:43], v[32:33], -0.5, v[56:57]
	v_add_f64_e32 v[32:33], v[78:79], v[90:91]
	v_fma_f64 v[46:47], v[32:33], -0.5, v[58:59]
	v_add_f64_e32 v[32:33], v[58:59], v[78:79]
	s_delay_alu instid0(VALU_DEP_1)
	v_add_f64_e32 v[34:35], v[32:33], v[90:91]
	v_add_f64_e32 v[32:33], v[40:41], v[88:89]
	v_fma_f64 v[40:41], v[44:45], s[2:3], v[42:43]
	v_fma_f64 v[44:45], v[44:45], s[10:11], v[42:43]
	;; [unrolled: 1-line block ×4, first 2 shown]
	scratch_load_b32 v48, off, off offset:452 th:TH_LOAD_LU ; 4-byte Folded Reload
	s_wait_loadcnt 0x0
	ds_store_b128 v48, v[32:35]
	ds_store_b128 v48, v[40:43] offset:32
	ds_store_b128 v48, v[44:47] offset:64
	v_add_f64_e32 v[32:33], v[80:81], v[92:93]
	v_add_f64_e64 v[44:45], v[80:81], -v[92:93]
	s_delay_alu instid0(VALU_DEP_2) | instskip(SKIP_2) | instid1(VALU_DEP_2)
	v_fma_f64 v[40:41], v[32:33], -0.5, v[36:37]
	v_add_f64_e32 v[32:33], v[60:61], v[94:95]
	v_add_f64_e32 v[36:37], v[36:37], v[80:81]
	v_fma_f64 v[42:43], v[32:33], -0.5, v[38:39]
	v_add_f64_e32 v[32:33], v[38:39], v[60:61]
	v_add_f64_e64 v[38:39], v[60:61], -v[94:95]
	s_delay_alu instid0(VALU_DEP_2) | instskip(SKIP_1) | instid1(VALU_DEP_3)
	v_add_f64_e32 v[34:35], v[32:33], v[94:95]
	v_add_f64_e32 v[32:33], v[36:37], v[92:93]
	v_fma_f64 v[36:37], v[38:39], s[2:3], v[40:41]
	v_fma_f64 v[40:41], v[38:39], s[10:11], v[40:41]
	;; [unrolled: 1-line block ×4, first 2 shown]
	scratch_load_b32 v44, off, off offset:432 th:TH_LOAD_LU ; 4-byte Folded Reload
	s_wait_loadcnt 0x0
	ds_store_b128 v44, v[32:35]
	ds_store_b128 v44, v[36:39] offset:32
	ds_store_b128 v44, v[40:43] offset:64
	global_wb scope:SCOPE_SE
	s_wait_dscnt 0x0
	s_barrier_signal -1
	s_barrier_wait -1
	global_inv scope:SCOPE_SE
	ds_load_b128 v[32:35], v128 offset:10080
	ds_load_b128 v[36:39], v128 offset:8064
	scratch_load_b128 v[42:45], off, off offset:348 th:TH_LOAD_LU ; 16-byte Folded Reload
	s_wait_loadcnt_dscnt 0x1
	v_mul_f64_e32 v[40:41], v[44:45], v[34:35]
	s_delay_alu instid0(VALU_DEP_1) | instskip(SKIP_1) | instid1(VALU_DEP_1)
	v_fma_f64 v[48:49], v[42:43], v[32:33], v[40:41]
	v_mul_f64_e32 v[32:33], v[44:45], v[32:33]
	v_fma_f64 v[50:51], v[42:43], v[34:35], -v[32:33]
	ds_load_b128 v[32:35], v128 offset:20160
	ds_load_b128 v[40:43], v128 offset:22176
	scratch_load_b128 v[54:57], off, off offset:364 th:TH_LOAD_LU ; 16-byte Folded Reload
	s_wait_loadcnt_dscnt 0x1
	v_mul_f64_e32 v[44:45], v[56:57], v[34:35]
	s_delay_alu instid0(VALU_DEP_1) | instskip(SKIP_1) | instid1(VALU_DEP_1)
	v_fma_f64 v[52:53], v[54:55], v[32:33], v[44:45]
	v_mul_f64_e32 v[32:33], v[56:57], v[32:33]
	v_fma_f64 v[54:55], v[54:55], v[34:35], -v[32:33]
	ds_load_b128 v[32:35], v128 offset:12096
	ds_load_b128 v[44:47], v128 offset:14112
	scratch_load_b128 v[62:65], off, off offset:380 th:TH_LOAD_LU ; 16-byte Folded Reload
	s_wait_loadcnt_dscnt 0x1
	v_mul_f64_e32 v[56:57], v[64:65], v[34:35]
	s_delay_alu instid0(VALU_DEP_1) | instskip(SKIP_2) | instid1(VALU_DEP_1)
	v_fma_f64 v[60:61], v[62:63], v[32:33], v[56:57]
	scratch_load_b128 v[56:59], off, off offset:396 th:TH_LOAD_LU ; 16-byte Folded Reload
	v_mul_f64_e32 v[32:33], v[64:65], v[32:33]
	v_fma_f64 v[62:63], v[62:63], v[34:35], -v[32:33]
	s_wait_loadcnt 0x0
	v_mul_f64_e32 v[32:33], v[58:59], v[42:43]
	s_delay_alu instid0(VALU_DEP_1) | instskip(SKIP_1) | instid1(VALU_DEP_1)
	v_fma_f64 v[64:65], v[56:57], v[40:41], v[32:33]
	v_mul_f64_e32 v[32:33], v[58:59], v[40:41]
	v_fma_f64 v[66:67], v[56:57], v[42:43], -v[32:33]
	s_wait_dscnt 0x0
	v_mul_f64_e32 v[32:33], v[178:179], v[46:47]
	s_delay_alu instid0(VALU_DEP_1) | instskip(SKIP_1) | instid1(VALU_DEP_1)
	v_fma_f64 v[72:73], v[176:177], v[44:45], v[32:33]
	v_mul_f64_e32 v[32:33], v[178:179], v[44:45]
	v_fma_f64 v[74:75], v[176:177], v[46:47], -v[32:33]
	ds_load_b128 v[32:35], v128 offset:24192
	ds_load_b128 v[40:43], v128 offset:26208
	s_wait_dscnt 0x1
	v_mul_f64_e32 v[44:45], v[170:171], v[34:35]
	s_delay_alu instid0(VALU_DEP_1) | instskip(SKIP_1) | instid1(VALU_DEP_1)
	v_fma_f64 v[76:77], v[168:169], v[32:33], v[44:45]
	v_mul_f64_e32 v[32:33], v[170:171], v[32:33]
	v_fma_f64 v[78:79], v[168:169], v[34:35], -v[32:33]
	ds_load_b128 v[32:35], v128 offset:16128
	ds_load_b128 v[44:47], v128 offset:18144
	s_wait_dscnt 0x1
	v_mul_f64_e32 v[56:57], v[190:191], v[34:35]
	s_delay_alu instid0(VALU_DEP_1) | instskip(SKIP_1) | instid1(VALU_DEP_1)
	v_fma_f64 v[80:81], v[188:189], v[32:33], v[56:57]
	v_mul_f64_e32 v[32:33], v[190:191], v[32:33]
	v_fma_f64 v[82:83], v[188:189], v[34:35], -v[32:33]
	v_mul_f64_e32 v[32:33], v[182:183], v[42:43]
	s_delay_alu instid0(VALU_DEP_1) | instskip(SKIP_1) | instid1(VALU_DEP_1)
	v_fma_f64 v[84:85], v[180:181], v[40:41], v[32:33]
	v_mul_f64_e32 v[32:33], v[182:183], v[40:41]
	v_fma_f64 v[86:87], v[180:181], v[42:43], -v[32:33]
	s_wait_dscnt 0x0
	v_mul_f64_e32 v[32:33], v[206:207], v[46:47]
	s_delay_alu instid0(VALU_DEP_1) | instskip(SKIP_2) | instid1(VALU_DEP_2)
	v_fma_f64 v[88:89], v[204:205], v[44:45], v[32:33]
	v_mul_f64_e32 v[32:33], v[206:207], v[44:45]
	v_add_f64_e32 v[44:45], v[48:49], v[52:53]
	v_fma_f64 v[90:91], v[204:205], v[46:47], -v[32:33]
	ds_load_b128 v[32:35], v128 offset:28224
	s_wait_dscnt 0x0
	v_mul_f64_e32 v[40:41], v[202:203], v[34:35]
	s_delay_alu instid0(VALU_DEP_1) | instskip(SKIP_1) | instid1(VALU_DEP_1)
	v_fma_f64 v[92:93], v[200:201], v[32:33], v[40:41]
	v_mul_f64_e32 v[32:33], v[202:203], v[32:33]
	v_fma_f64 v[94:95], v[200:201], v[34:35], -v[32:33]
	ds_load_b128 v[32:35], v128
	ds_load_b128 v[40:43], v128 offset:2016
	s_wait_dscnt 0x1
	v_fma_f64 v[46:47], v[44:45], -0.5, v[32:33]
	v_add_f64_e32 v[44:45], v[50:51], v[54:55]
	v_add_f64_e32 v[32:33], v[32:33], v[48:49]
	s_delay_alu instid0(VALU_DEP_2) | instskip(SKIP_2) | instid1(VALU_DEP_4)
	v_fma_f64 v[56:57], v[44:45], -0.5, v[34:35]
	v_add_f64_e32 v[34:35], v[34:35], v[50:51]
	v_add_f64_e64 v[50:51], v[50:51], -v[54:55]
	v_add_f64_e32 v[32:33], v[32:33], v[52:53]
	v_add_f64_e64 v[52:53], v[48:49], -v[52:53]
	s_delay_alu instid0(VALU_DEP_4) | instskip(NEXT) | instid1(VALU_DEP_4)
	v_add_f64_e32 v[34:35], v[34:35], v[54:55]
	v_fma_f64 v[44:45], v[50:51], s[2:3], v[46:47]
	v_fma_f64 v[48:49], v[50:51], s[10:11], v[46:47]
	s_delay_alu instid0(VALU_DEP_4)
	v_fma_f64 v[46:47], v[52:53], s[10:11], v[56:57]
	v_fma_f64 v[50:51], v[52:53], s[2:3], v[56:57]
	ds_load_b128 v[52:55], v128 offset:4032
	ds_load_b128 v[56:59], v128 offset:6048
	global_wb scope:SCOPE_SE
	s_wait_dscnt 0x0
	s_barrier_signal -1
	s_barrier_wait -1
	global_inv scope:SCOPE_SE
	scratch_load_b32 v96, off, off offset:536 th:TH_LOAD_LU ; 4-byte Folded Reload
	s_wait_loadcnt 0x0
	ds_store_b128 v96, v[32:35]
	ds_store_b128 v96, v[44:47] offset:96
	ds_store_b128 v96, v[48:51] offset:192
	v_add_f64_e32 v[32:33], v[60:61], v[64:65]
	v_add_f64_e64 v[48:49], v[60:61], -v[64:65]
	s_delay_alu instid0(VALU_DEP_2) | instskip(SKIP_2) | instid1(VALU_DEP_2)
	v_fma_f64 v[44:45], v[32:33], -0.5, v[40:41]
	v_add_f64_e32 v[32:33], v[62:63], v[66:67]
	v_add_f64_e32 v[40:41], v[40:41], v[60:61]
	v_fma_f64 v[46:47], v[32:33], -0.5, v[42:43]
	v_add_f64_e32 v[32:33], v[42:43], v[62:63]
	v_add_f64_e64 v[42:43], v[62:63], -v[66:67]
	s_delay_alu instid0(VALU_DEP_2) | instskip(SKIP_1) | instid1(VALU_DEP_3)
	v_add_f64_e32 v[34:35], v[32:33], v[66:67]
	v_add_f64_e32 v[32:33], v[40:41], v[64:65]
	v_fma_f64 v[40:41], v[42:43], s[2:3], v[44:45]
	v_fma_f64 v[44:45], v[42:43], s[10:11], v[44:45]
	;; [unrolled: 1-line block ×4, first 2 shown]
	scratch_load_b32 v48, off, off offset:532 th:TH_LOAD_LU ; 4-byte Folded Reload
	s_wait_loadcnt 0x0
	ds_store_b128 v48, v[32:35]
	ds_store_b128 v48, v[40:43] offset:96
	ds_store_b128 v48, v[44:47] offset:192
	v_add_f64_e32 v[32:33], v[72:73], v[76:77]
	v_add_f64_e32 v[40:41], v[52:53], v[72:73]
	v_add_f64_e64 v[44:45], v[74:75], -v[78:79]
	v_add_f64_e64 v[48:49], v[72:73], -v[76:77]
	s_delay_alu instid0(VALU_DEP_4) | instskip(SKIP_2) | instid1(VALU_DEP_2)
	v_fma_f64 v[42:43], v[32:33], -0.5, v[52:53]
	v_add_f64_e32 v[32:33], v[74:75], v[78:79]
	v_add_f64_e64 v[52:53], v[90:91], -v[94:95]
	v_fma_f64 v[46:47], v[32:33], -0.5, v[54:55]
	v_add_f64_e32 v[32:33], v[54:55], v[74:75]
	s_delay_alu instid0(VALU_DEP_1)
	v_add_f64_e32 v[34:35], v[32:33], v[78:79]
	v_add_f64_e32 v[32:33], v[40:41], v[76:77]
	v_fma_f64 v[40:41], v[44:45], s[2:3], v[42:43]
	v_fma_f64 v[44:45], v[44:45], s[10:11], v[42:43]
	;; [unrolled: 1-line block ×4, first 2 shown]
	scratch_load_b32 v48, off, off offset:520 th:TH_LOAD_LU ; 4-byte Folded Reload
	s_wait_loadcnt 0x0
	ds_store_b128 v48, v[32:35]
	ds_store_b128 v48, v[40:43] offset:96
	ds_store_b128 v48, v[44:47] offset:192
	v_add_f64_e32 v[32:33], v[80:81], v[84:85]
	v_add_f64_e32 v[40:41], v[56:57], v[80:81]
	v_add_f64_e64 v[44:45], v[82:83], -v[86:87]
	v_add_f64_e64 v[48:49], v[80:81], -v[84:85]
	s_delay_alu instid0(VALU_DEP_4) | instskip(SKIP_2) | instid1(VALU_DEP_2)
	v_fma_f64 v[42:43], v[32:33], -0.5, v[56:57]
	v_add_f64_e32 v[32:33], v[82:83], v[86:87]
	v_add_f64_e64 v[56:57], v[88:89], -v[92:93]
	v_fma_f64 v[46:47], v[32:33], -0.5, v[58:59]
	v_add_f64_e32 v[32:33], v[58:59], v[82:83]
	s_delay_alu instid0(VALU_DEP_1)
	v_add_f64_e32 v[34:35], v[32:33], v[86:87]
	v_add_f64_e32 v[32:33], v[40:41], v[84:85]
	v_fma_f64 v[40:41], v[44:45], s[2:3], v[42:43]
	v_fma_f64 v[44:45], v[44:45], s[10:11], v[42:43]
	;; [unrolled: 1-line block ×4, first 2 shown]
	v_add_f64_e32 v[48:49], v[88:89], v[92:93]
	s_delay_alu instid0(VALU_DEP_1) | instskip(SKIP_2) | instid1(VALU_DEP_2)
	v_fma_f64 v[50:51], v[48:49], -0.5, v[36:37]
	v_add_f64_e32 v[48:49], v[90:91], v[94:95]
	v_add_f64_e32 v[36:37], v[36:37], v[88:89]
	v_fma_f64 v[54:55], v[48:49], -0.5, v[38:39]
	s_delay_alu instid0(VALU_DEP_4)
	v_fma_f64 v[48:49], v[52:53], s[2:3], v[50:51]
	v_fma_f64 v[52:53], v[52:53], s[10:11], v[50:51]
	v_add_f64_e32 v[38:39], v[38:39], v[90:91]
	v_add_f64_e32 v[36:37], v[36:37], v[92:93]
	v_fma_f64 v[50:51], v[56:57], s[10:11], v[54:55]
	v_fma_f64 v[54:55], v[56:57], s[2:3], v[54:55]
	scratch_load_b32 v56, off, off offset:504 th:TH_LOAD_LU ; 4-byte Folded Reload
	v_add_f64_e32 v[38:39], v[38:39], v[94:95]
	s_wait_loadcnt 0x0
	ds_store_b128 v56, v[32:35]
	ds_store_b128 v56, v[40:43] offset:96
	ds_store_b128 v56, v[44:47] offset:192
	scratch_load_b32 v32, off, off offset:500 th:TH_LOAD_LU ; 4-byte Folded Reload
	s_wait_loadcnt 0x0
	ds_store_b128 v32, v[36:39]
	ds_store_b128 v32, v[48:51] offset:96
	ds_store_b128 v32, v[52:55] offset:192
	global_wb scope:SCOPE_SE
	s_wait_dscnt 0x0
	s_barrier_signal -1
	s_barrier_wait -1
	global_inv scope:SCOPE_SE
	ds_load_b128 v[32:35], v128 offset:10080
	ds_load_b128 v[36:39], v128 offset:8064
	scratch_load_b128 v[54:57], off, off offset:416 th:TH_LOAD_LU ; 16-byte Folded Reload
	ds_load_b128 v[40:43], v128 offset:20160
	ds_load_b128 v[44:47], v128 offset:22176
	s_clause 0x1
	scratch_load_b128 v[62:65], off, off offset:484 th:TH_LOAD_LU
	scratch_load_b128 v[72:75], off, off offset:468 th:TH_LOAD_LU
	s_wait_loadcnt_dscnt 0x203
	v_mul_f64_e32 v[48:49], v[56:57], v[34:35]
	v_mul_f64_e32 v[50:51], v[56:57], v[32:33]
	scratch_load_b128 v[56:59], off, off offset:436 th:TH_LOAD_LU ; 16-byte Folded Reload
	s_wait_loadcnt_dscnt 0x100
	v_mul_f64_e32 v[60:61], v[74:75], v[46:47]
	v_fma_f64 v[48:49], v[54:55], v[32:33], v[48:49]
	v_fma_f64 v[50:51], v[54:55], v[34:35], -v[50:51]
	ds_load_b128 v[32:35], v128 offset:12096
	v_fma_f64 v[60:61], v[72:73], v[44:45], v[60:61]
	s_wait_loadcnt 0x0
	v_mul_f64_e32 v[52:53], v[58:59], v[42:43]
	v_mul_f64_e32 v[54:55], v[58:59], v[40:41]
	s_delay_alu instid0(VALU_DEP_2) | instskip(NEXT) | instid1(VALU_DEP_2)
	v_fma_f64 v[52:53], v[56:57], v[40:41], v[52:53]
	v_fma_f64 v[54:55], v[56:57], v[42:43], -v[54:55]
	ds_load_b128 v[40:43], v128 offset:14112
	s_wait_dscnt 0x1
	v_mul_f64_e32 v[56:57], v[64:65], v[34:35]
	v_mul_f64_e32 v[58:59], v[64:65], v[32:33]
	s_wait_dscnt 0x0
	v_mul_f64_e32 v[64:65], v[126:127], v[40:41]
	v_add_f64_e64 v[98:99], v[48:49], -v[52:53]
	s_delay_alu instid0(VALU_DEP_4) | instskip(SKIP_4) | instid1(VALU_DEP_4)
	v_fma_f64 v[56:57], v[62:63], v[32:33], v[56:57]
	v_mul_f64_e32 v[32:33], v[74:75], v[44:45]
	v_fma_f64 v[58:59], v[62:63], v[34:35], -v[58:59]
	v_mul_f64_e32 v[62:63], v[126:127], v[42:43]
	v_fma_f64 v[76:77], v[124:125], v[42:43], -v[64:65]
	v_fma_f64 v[66:67], v[72:73], v[46:47], -v[32:33]
	ds_load_b128 v[32:35], v128 offset:24192
	ds_load_b128 v[44:47], v128 offset:26208
	v_fma_f64 v[74:75], v[124:125], v[40:41], v[62:63]
	ds_load_b128 v[40:43], v128 offset:16128
	s_wait_dscnt 0x2
	v_mul_f64_e32 v[72:73], v[122:123], v[34:35]
	v_mul_f64_e32 v[62:63], v[122:123], v[32:33]
	s_wait_dscnt 0x1
	v_mul_f64_e32 v[80:81], v[70:71], v[46:47]
	s_delay_alu instid0(VALU_DEP_3) | instskip(NEXT) | instid1(VALU_DEP_3)
	v_fma_f64 v[72:73], v[120:121], v[32:33], v[72:73]
	v_fma_f64 v[78:79], v[120:121], v[34:35], -v[62:63]
	ds_load_b128 v[32:35], v128 offset:18144
	s_wait_dscnt 0x1
	v_mul_f64_e32 v[62:63], v[134:135], v[42:43]
	v_mul_f64_e32 v[64:65], v[134:135], v[40:41]
	v_fma_f64 v[80:81], v[68:69], v[44:45], v[80:81]
	v_add_f64_e32 v[100:101], v[74:75], v[72:73]
	s_delay_alu instid0(VALU_DEP_4)
	v_fma_f64 v[82:83], v[132:133], v[40:41], v[62:63]
	v_mul_f64_e32 v[62:63], v[70:71], v[44:45]
	v_fma_f64 v[84:85], v[132:133], v[42:43], -v[64:65]
	ds_load_b128 v[40:43], v128 offset:28224
	s_wait_dscnt 0x1
	v_mul_f64_e32 v[64:65], v[142:143], v[34:35]
	v_mul_f64_e32 v[44:45], v[142:143], v[32:33]
	v_add_f64_e32 v[70:71], v[58:59], v[66:67]
	v_fma_f64 v[86:87], v[68:69], v[46:47], -v[62:63]
	s_wait_dscnt 0x0
	v_mul_f64_e32 v[46:47], v[138:139], v[42:43]
	v_mul_f64_e32 v[62:63], v[138:139], v[40:41]
	v_fma_f64 v[88:89], v[140:141], v[32:33], v[64:65]
	v_fma_f64 v[90:91], v[140:141], v[34:35], -v[44:45]
	v_add_f64_e32 v[44:45], v[48:49], v[52:53]
	v_add_f64_e32 v[64:65], v[50:51], v[54:55]
	;; [unrolled: 1-line block ×3, first 2 shown]
	v_fma_f64 v[92:93], v[136:137], v[40:41], v[46:47]
	v_fma_f64 v[94:95], v[136:137], v[42:43], -v[62:63]
	ds_load_b128 v[32:35], v128
	ds_load_b128 v[40:43], v128 offset:2016
	s_wait_dscnt 0x1
	v_add_f64_e32 v[46:47], v[34:35], v[50:51]
	v_fma_f64 v[62:63], v[44:45], -0.5, v[32:33]
	v_fma_f64 v[64:65], v[64:65], -0.5, v[34:35]
	v_add_f64_e32 v[32:33], v[32:33], v[48:49]
	s_wait_dscnt 0x0
	v_add_f64_e32 v[44:45], v[40:41], v[56:57]
	v_fma_f64 v[68:69], v[68:69], -0.5, v[40:41]
	v_add_f64_e32 v[96:97], v[42:43], v[58:59]
	v_add_f64_e64 v[50:51], v[50:51], -v[54:55]
	v_add_f64_e64 v[58:59], v[58:59], -v[66:67]
	v_fma_f64 v[70:71], v[70:71], -0.5, v[42:43]
	v_add_f64_e64 v[56:57], v[56:57], -v[60:61]
	ds_load_b128 v[40:43], v128 offset:4032
	v_add_f64_e32 v[34:35], v[46:47], v[54:55]
	v_fma_f64 v[54:55], v[98:99], s[2:3], v[64:65]
	v_add_f64_e32 v[32:33], v[32:33], v[52:53]
	v_add_f64_e32 v[44:45], v[44:45], v[60:61]
	;; [unrolled: 1-line block ×3, first 2 shown]
	v_fma_f64 v[48:49], v[50:51], s[2:3], v[62:63]
	v_fma_f64 v[52:53], v[50:51], s[10:11], v[62:63]
	;; [unrolled: 1-line block ×5, first 2 shown]
	v_add_f64_e32 v[68:69], v[76:77], v[78:79]
	v_fma_f64 v[62:63], v[56:57], s[10:11], v[70:71]
	v_fma_f64 v[66:67], v[56:57], s[2:3], v[70:71]
	ds_load_b128 v[56:59], v128 offset:6048
	s_wait_dscnt 0x1
	v_fma_f64 v[70:71], v[100:101], -0.5, v[40:41]
	v_add_f64_e32 v[40:41], v[40:41], v[74:75]
	v_add_f64_e64 v[74:75], v[74:75], -v[72:73]
	global_wb scope:SCOPE_SE
	s_wait_dscnt 0x0
	s_barrier_signal -1
	s_barrier_wait -1
	global_inv scope:SCOPE_SE
	v_fma_f64 v[96:97], v[68:69], -0.5, v[42:43]
	v_add_f64_e32 v[42:43], v[42:43], v[76:77]
	v_add_f64_e64 v[76:77], v[76:77], -v[78:79]
	v_add_f64_e32 v[40:41], v[40:41], v[72:73]
	s_delay_alu instid0(VALU_DEP_3) | instskip(NEXT) | instid1(VALU_DEP_3)
	v_add_f64_e32 v[42:43], v[42:43], v[78:79]
	v_fma_f64 v[68:69], v[76:77], s[2:3], v[70:71]
	v_fma_f64 v[72:73], v[76:77], s[10:11], v[70:71]
	v_add_f64_e32 v[76:77], v[82:83], v[80:81]
	v_fma_f64 v[70:71], v[74:75], s[10:11], v[96:97]
	v_fma_f64 v[74:75], v[74:75], s[2:3], v[96:97]
	s_delay_alu instid0(VALU_DEP_3) | instskip(SKIP_2) | instid1(VALU_DEP_2)
	v_fma_f64 v[96:97], v[76:77], -0.5, v[56:57]
	v_add_f64_e32 v[76:77], v[84:85], v[86:87]
	v_add_f64_e32 v[56:57], v[56:57], v[82:83]
	v_fma_f64 v[98:99], v[76:77], -0.5, v[58:59]
	v_add_f64_e32 v[58:59], v[58:59], v[84:85]
	s_delay_alu instid0(VALU_DEP_3) | instskip(SKIP_2) | instid1(VALU_DEP_4)
	v_add_f64_e32 v[76:77], v[56:57], v[80:81]
	v_add_f64_e64 v[56:57], v[82:83], -v[80:81]
	v_add_f64_e64 v[84:85], v[84:85], -v[86:87]
	v_add_f64_e32 v[78:79], v[58:59], v[86:87]
	v_add_f64_e32 v[58:59], v[90:91], v[94:95]
	s_delay_alu instid0(VALU_DEP_4)
	v_fma_f64 v[82:83], v[56:57], s[10:11], v[98:99]
	v_fma_f64 v[86:87], v[56:57], s[2:3], v[98:99]
	v_add_f64_e32 v[56:57], v[88:89], v[92:93]
	v_fma_f64 v[80:81], v[84:85], s[2:3], v[96:97]
	v_fma_f64 v[84:85], v[84:85], s[10:11], v[96:97]
	v_fma_f64 v[58:59], v[58:59], -0.5, v[38:39]
	v_add_f64_e32 v[38:39], v[38:39], v[90:91]
	v_add_f64_e64 v[90:91], v[90:91], -v[94:95]
	v_fma_f64 v[56:57], v[56:57], -0.5, v[36:37]
	v_add_f64_e32 v[36:37], v[36:37], v[88:89]
	s_delay_alu instid0(VALU_DEP_4) | instskip(NEXT) | instid1(VALU_DEP_2)
	v_add_f64_e32 v[38:39], v[38:39], v[94:95]
	v_add_f64_e32 v[36:37], v[36:37], v[92:93]
	v_add_f64_e64 v[92:93], v[88:89], -v[92:93]
	v_fma_f64 v[88:89], v[90:91], s[2:3], v[56:57]
	v_fma_f64 v[56:57], v[90:91], s[10:11], v[56:57]
	s_delay_alu instid0(VALU_DEP_3)
	v_fma_f64 v[90:91], v[92:93], s[10:11], v[58:59]
	v_fma_f64 v[58:59], v[92:93], s[2:3], v[58:59]
	scratch_load_b32 v92, off, off offset:528 th:TH_LOAD_LU ; 4-byte Folded Reload
	s_wait_loadcnt 0x0
	ds_store_b128 v92, v[32:35]
	ds_store_b128 v92, v[48:51] offset:288
	ds_store_b128 v92, v[52:55] offset:576
	scratch_load_b32 v32, off, off offset:524 th:TH_LOAD_LU ; 4-byte Folded Reload
	s_wait_loadcnt 0x0
	ds_store_b128 v32, v[44:47]
	ds_store_b128 v32, v[60:63] offset:288
	ds_store_b128 v32, v[64:67] offset:576
	scratch_load_b32 v32, off, off offset:516 th:TH_LOAD_LU ; 4-byte Folded Reload
	s_wait_loadcnt 0x0
	ds_store_b128 v32, v[40:43]
	ds_store_b128 v32, v[68:71] offset:288
	ds_store_b128 v32, v[72:75] offset:576
	scratch_load_b32 v32, off, off offset:512 th:TH_LOAD_LU ; 4-byte Folded Reload
	s_wait_loadcnt 0x0
	ds_store_b128 v32, v[76:79]
	ds_store_b128 v32, v[80:83] offset:288
	ds_store_b128 v32, v[84:87] offset:576
	scratch_load_b32 v32, off, off offset:508 th:TH_LOAD_LU ; 4-byte Folded Reload
	s_wait_loadcnt 0x0
	ds_store_b128 v32, v[36:39]
	ds_store_b128 v32, v[88:91] offset:288
	ds_store_b128 v32, v[56:59] offset:576
	global_wb scope:SCOPE_SE
	s_wait_dscnt 0x0
	s_barrier_signal -1
	s_barrier_wait -1
	global_inv scope:SCOPE_SE
	ds_load_b128 v[60:63], v128
	ds_load_b128 v[32:35], v128 offset:2016
	ds_load_b128 v[120:123], v128 offset:4320
	;; [unrolled: 1-line block ×13, first 2 shown]
	s_and_saveexec_b32 s1, s0
	s_cbranch_execz .LBB0_19
; %bb.18:
	ds_load_b128 v[56:59], v128 offset:4032
	ds_load_b128 v[28:31], v128 offset:8352
	;; [unrolled: 1-line block ×3, first 2 shown]
	s_wait_dscnt 0x0
	scratch_store_b128 off, v[44:47], off offset:40 ; 16-byte Folded Spill
	ds_load_b128 v[44:47], v128 offset:16992
	s_wait_dscnt 0x0
	scratch_store_b128 off, v[44:47], off offset:8 ; 16-byte Folded Spill
	ds_load_b128 v[44:47], v128 offset:21312
	;; [unrolled: 3-line block ×4, first 2 shown]
	s_wait_dscnt 0x0
	scratch_store_b128 off, v[44:47], off offset:72 ; 16-byte Folded Spill
.LBB0_19:
	s_wait_alu 0xfffe
	s_or_b32 exec_lo, exec_lo, s1
	s_wait_dscnt 0x2
	v_mul_f64_e32 v[92:93], v[210:211], v[74:75]
	v_mul_f64_e32 v[44:45], v[154:155], v[122:123]
	;; [unrolled: 1-line block ×3, first 2 shown]
	s_wait_dscnt 0x1
	v_mul_f64_e32 v[52:53], v[186:187], v[126:127]
	v_mul_f64_e32 v[80:81], v[174:175], v[114:115]
	v_mul_f64_e32 v[46:47], v[154:155], v[120:121]
	v_mul_f64_e32 v[50:51], v[158:159], v[116:117]
	v_mul_f64_e32 v[54:55], v[186:187], v[124:125]
	v_mul_f64_e32 v[82:83], v[174:175], v[112:113]
	v_mul_f64_e32 v[84:85], v[194:195], v[98:99]
	v_mul_f64_e32 v[86:87], v[194:195], v[96:97]
	v_mul_f64_e32 v[88:89], v[198:199], v[78:79]
	v_mul_f64_e32 v[94:95], v[166:167], v[36:37]
	s_wait_dscnt 0x0
	v_mul_f64_e32 v[90:91], v[214:215], v[108:109]
	s_mov_b32 s18, 0xe976ee23
	s_mov_b32 s2, 0x429ad128
	;; [unrolled: 1-line block ×7, first 2 shown]
	s_wait_alu 0xfffe
	s_mov_b32 s12, s10
	s_mov_b32 s20, 0x36b3c0b5
	;; [unrolled: 1-line block ×8, first 2 shown]
	s_wait_alu 0xfffe
	s_mov_b32 s16, s14
	s_mov_b32 s24, 0x37c3f68c
	;; [unrolled: 1-line block ×3, first 2 shown]
	global_wb scope:SCOPE_SE
	s_wait_storecnt 0x0
	s_barrier_signal -1
	s_barrier_wait -1
	global_inv scope:SCOPE_SE
	v_fma_f64 v[92:93], v[208:209], v[72:73], v[92:93]
	v_mul_f64_e32 v[72:73], v[210:211], v[72:73]
	v_fma_f64 v[44:45], v[152:153], v[120:121], v[44:45]
	v_fma_f64 v[48:49], v[156:157], v[116:117], v[48:49]
	;; [unrolled: 1-line block ×4, first 2 shown]
	v_fma_f64 v[46:47], v[152:153], v[122:123], -v[46:47]
	v_fma_f64 v[50:51], v[156:157], v[118:119], -v[50:51]
	;; [unrolled: 1-line block ×4, first 2 shown]
	v_fma_f64 v[84:85], v[192:193], v[96:97], v[84:85]
	v_fma_f64 v[86:87], v[192:193], v[98:99], -v[86:87]
	v_fma_f64 v[88:89], v[196:197], v[76:77], v[88:89]
	v_mul_f64_e32 v[76:77], v[198:199], v[76:77]
	v_fma_f64 v[90:91], v[212:213], v[110:111], -v[90:91]
	v_fma_f64 v[94:95], v[164:165], v[38:39], -v[94:95]
	;; [unrolled: 1-line block ×3, first 2 shown]
	v_mul_f64_e32 v[74:75], v[146:147], v[70:71]
	v_add_f64_e32 v[96:97], v[44:45], v[52:53]
	v_add_f64_e32 v[98:99], v[48:49], v[80:81]
	v_add_f64_e64 v[48:49], v[48:49], -v[80:81]
	v_add_f64_e64 v[44:45], v[44:45], -v[52:53]
	v_add_f64_e32 v[102:103], v[46:47], v[54:55]
	v_add_f64_e32 v[106:107], v[50:51], v[82:83]
	v_add_f64_e64 v[50:51], v[50:51], -v[82:83]
	v_add_f64_e64 v[46:47], v[46:47], -v[54:55]
	;; [unrolled: 1-line block ×3, first 2 shown]
	v_fma_f64 v[76:77], v[196:197], v[78:79], -v[76:77]
	v_mul_f64_e32 v[78:79], v[214:215], v[110:111]
	v_add_f64_e32 v[116:117], v[86:87], v[90:91]
	v_fma_f64 v[74:75], v[144:145], v[68:69], v[74:75]
	v_mul_f64_e32 v[68:69], v[146:147], v[68:69]
	v_add_f64_e64 v[80:81], v[106:107], -v[102:103]
	v_add_f64_e32 v[118:119], v[76:77], v[72:73]
	v_fma_f64 v[78:79], v[212:213], v[108:109], v[78:79]
	s_delay_alu instid0(VALU_DEP_4) | instskip(SKIP_1) | instid1(VALU_DEP_4)
	v_fma_f64 v[68:69], v[144:145], v[70:71], -v[68:69]
	v_mul_f64_e32 v[70:71], v[150:151], v[66:67]
	v_add_f64_e32 v[122:123], v[118:119], v[116:117]
	s_delay_alu instid0(VALU_DEP_2) | instskip(SKIP_1) | instid1(VALU_DEP_2)
	v_fma_f64 v[70:71], v[148:149], v[64:65], v[70:71]
	v_mul_f64_e32 v[64:65], v[150:151], v[64:65]
	v_add_f64_e32 v[100:101], v[74:75], v[70:71]
	s_delay_alu instid0(VALU_DEP_2) | instskip(SKIP_3) | instid1(VALU_DEP_4)
	v_fma_f64 v[64:65], v[148:149], v[66:67], -v[64:65]
	v_mul_f64_e32 v[66:67], v[162:163], v[42:43]
	v_add_f64_e64 v[70:71], v[70:71], -v[74:75]
	v_add_f64_e64 v[74:75], v[98:99], -v[96:97]
	v_add_f64_e32 v[108:109], v[68:69], v[64:65]
	s_delay_alu instid0(VALU_DEP_4)
	v_fma_f64 v[66:67], v[160:161], v[40:41], v[66:67]
	v_mul_f64_e32 v[40:41], v[162:163], v[40:41]
	v_add_f64_e64 v[52:53], v[64:65], -v[68:69]
	v_add_f64_e64 v[64:65], v[84:85], -v[78:79]
	;; [unrolled: 1-line block ×4, first 2 shown]
	v_fma_f64 v[40:41], v[160:161], v[42:43], -v[40:41]
	v_mul_f64_e32 v[42:43], v[166:167], v[38:39]
	s_delay_alu instid0(VALU_DEP_2) | instskip(NEXT) | instid1(VALU_DEP_2)
	v_add_f64_e32 v[120:121], v[40:41], v[94:95]
	v_fma_f64 v[42:43], v[164:165], v[36:37], v[42:43]
	v_add_f64_e32 v[36:37], v[98:99], v[96:97]
	v_add_f64_e64 v[40:41], v[94:95], -v[40:41]
	v_add_f64_e64 v[94:95], v[70:71], -v[48:49]
	;; [unrolled: 1-line block ×3, first 2 shown]
	v_add_f64_e32 v[112:113], v[66:67], v[42:43]
	v_add_f64_e32 v[104:105], v[100:101], v[36:37]
	;; [unrolled: 1-line block ×3, first 2 shown]
	v_add_f64_e64 v[42:43], v[42:43], -v[66:67]
	v_add_f64_e64 v[66:67], v[76:77], -v[72:73]
	;; [unrolled: 1-line block ×6, first 2 shown]
	v_add_f64_e32 v[122:123], v[120:121], v[122:123]
	v_add_f64_e32 v[110:111], v[108:109], v[36:37]
	v_add_f64_e64 v[98:99], v[42:43], -v[54:55]
	v_add_f64_e64 v[100:101], v[40:41], -v[66:67]
	v_add_f64_e32 v[36:37], v[60:61], v[104:105]
	v_add_f64_e32 v[60:61], v[84:85], v[78:79]
	v_add_f64_e64 v[78:79], v[108:109], -v[106:107]
	v_mul_f64_e32 v[76:77], s[22:23], v[76:77]
	v_add_f64_e32 v[34:35], v[34:35], v[122:123]
	v_add_f64_e32 v[38:39], v[62:63], v[110:111]
	;; [unrolled: 1-line block ×4, first 2 shown]
	v_add_f64_e64 v[48:49], v[48:49], -v[44:45]
	v_add_f64_e64 v[70:71], v[44:45], -v[70:71]
	;; [unrolled: 1-line block ×3, first 2 shown]
	v_add_f64_e32 v[114:115], v[62:63], v[60:61]
	v_add_f64_e32 v[44:45], v[92:93], v[44:45]
	;; [unrolled: 1-line block ×3, first 2 shown]
	v_add_f64_e64 v[50:51], v[50:51], -v[46:47]
	v_add_f64_e64 v[52:53], v[46:47], -v[52:53]
	;; [unrolled: 1-line block ×5, first 2 shown]
	v_add_f64_e32 v[114:115], v[112:113], v[114:115]
	v_add_f64_e32 v[46:47], v[92:93], v[46:47]
	;; [unrolled: 1-line block ×3, first 2 shown]
	v_add_f64_e64 v[54:55], v[54:55], -v[64:65]
	v_add_f64_e64 v[42:43], v[64:65], -v[42:43]
	v_mul_f64_e32 v[60:61], s[22:23], v[60:61]
	v_add_f64_e32 v[32:33], v[32:33], v[114:115]
	v_add_f64_e32 v[64:65], v[92:93], v[64:65]
	;; [unrolled: 1-line block ×3, first 2 shown]
	v_add_f64_e64 v[66:67], v[66:67], -v[68:69]
	v_add_f64_e64 v[40:41], v[68:69], -v[40:41]
	s_delay_alu instid0(VALU_DEP_3) | instskip(SKIP_2) | instid1(VALU_DEP_2)
	v_add_f64_e32 v[68:69], v[92:93], v[68:69]
	v_mul_f64_e32 v[92:93], s[18:19], v[94:95]
	v_mul_f64_e32 v[94:95], s[2:3], v[48:49]
	v_fma_f64 v[48:49], v[48:49], s[2:3], -v[92:93]
	s_delay_alu instid0(VALU_DEP_2)
	v_fma_f64 v[94:95], v[70:71], s[12:13], -v[94:95]
	v_fma_f64 v[70:71], v[70:71], s[10:11], v[92:93]
	v_mul_f64_e32 v[92:93], s[18:19], v[96:97]
	v_mul_f64_e32 v[96:97], s[2:3], v[50:51]
	s_wait_alu 0xfffe
	v_fma_f64 v[48:49], v[44:45], s[24:25], v[48:49]
	s_delay_alu instid0(VALU_DEP_4) | instskip(NEXT) | instid1(VALU_DEP_4)
	v_fma_f64 v[70:71], v[44:45], s[24:25], v[70:71]
	v_fma_f64 v[50:51], v[50:51], s[2:3], -v[92:93]
	s_delay_alu instid0(VALU_DEP_4) | instskip(SKIP_3) | instid1(VALU_DEP_2)
	v_fma_f64 v[96:97], v[52:53], s[12:13], -v[96:97]
	v_fma_f64 v[52:53], v[52:53], s[10:11], v[92:93]
	v_mul_f64_e32 v[92:93], s[20:21], v[72:73]
	v_fma_f64 v[72:73], v[72:73], s[20:21], v[76:77]
	v_fma_f64 v[92:93], v[74:75], s[14:15], -v[92:93]
	v_fma_f64 v[74:75], v[74:75], s[16:17], -v[76:77]
	v_mul_f64_e32 v[76:77], s[22:23], v[82:83]
	v_mul_f64_e32 v[82:83], s[20:21], v[78:79]
	s_delay_alu instid0(VALU_DEP_1) | instskip(NEXT) | instid1(VALU_DEP_3)
	v_fma_f64 v[82:83], v[80:81], s[14:15], -v[82:83]
	v_fma_f64 v[80:81], v[80:81], s[16:17], -v[76:77]
	v_fma_f64 v[76:77], v[78:79], s[20:21], v[76:77]
	v_mul_f64_e32 v[78:79], s[18:19], v[98:99]
	v_mul_f64_e32 v[98:99], s[2:3], v[54:55]
	s_delay_alu instid0(VALU_DEP_2) | instskip(NEXT) | instid1(VALU_DEP_2)
	v_fma_f64 v[54:55], v[54:55], s[2:3], -v[78:79]
	v_fma_f64 v[98:99], v[42:43], s[12:13], -v[98:99]
	v_fma_f64 v[42:43], v[42:43], s[10:11], v[78:79]
	v_mul_f64_e32 v[78:79], s[18:19], v[100:101]
	v_mul_f64_e32 v[100:101], s[2:3], v[66:67]
	v_fma_f64 v[102:103], v[64:65], s[24:25], v[54:55]
	v_fma_f64 v[98:99], v[64:65], s[24:25], v[98:99]
	s_delay_alu instid0(VALU_DEP_4) | instskip(NEXT) | instid1(VALU_DEP_4)
	v_fma_f64 v[66:67], v[66:67], s[2:3], -v[78:79]
	v_fma_f64 v[100:101], v[40:41], s[12:13], -v[100:101]
	v_fma_f64 v[40:41], v[40:41], s[10:11], v[78:79]
	v_mul_f64_e32 v[78:79], s[20:21], v[84:85]
	s_delay_alu instid0(VALU_DEP_3) | instskip(NEXT) | instid1(VALU_DEP_3)
	v_fma_f64 v[100:101], v[68:69], s[24:25], v[100:101]
	v_fma_f64 v[106:107], v[68:69], s[24:25], v[40:41]
	s_delay_alu instid0(VALU_DEP_3) | instskip(SKIP_4) | instid1(VALU_DEP_1)
	v_fma_f64 v[78:79], v[62:63], s[14:15], -v[78:79]
	v_fma_f64 v[62:63], v[62:63], s[16:17], -v[60:61]
	v_fma_f64 v[60:61], v[84:85], s[20:21], v[60:61]
	v_mul_f64_e32 v[84:85], s[22:23], v[90:91]
	v_mul_f64_e32 v[90:91], s[20:21], v[86:87]
	v_fma_f64 v[90:91], v[88:89], s[14:15], -v[90:91]
	s_delay_alu instid0(VALU_DEP_3)
	v_fma_f64 v[88:89], v[88:89], s[16:17], -v[84:85]
	v_fma_f64 v[84:85], v[86:87], s[20:21], v[84:85]
	v_fma_f64 v[86:87], v[44:45], s[24:25], v[94:95]
	;; [unrolled: 1-line block ×7, first 2 shown]
	s_delay_alu instid0(VALU_DEP_2)
	v_add_f64_e32 v[50:51], v[92:93], v[46:47]
	v_add_f64_e32 v[52:53], v[74:75], v[46:47]
	;; [unrolled: 1-line block ×3, first 2 shown]
	v_fma_f64 v[46:47], v[110:111], s[26:27], v[38:39]
	v_fma_f64 v[74:75], v[114:115], s[26:27], v[32:33]
	;; [unrolled: 1-line block ×3, first 2 shown]
	v_add_f64_e64 v[40:41], v[50:51], -v[44:45]
	v_add_f64_e32 v[44:45], v[44:45], v[50:51]
	v_add_f64_e32 v[66:67], v[76:77], v[46:47]
	;; [unrolled: 1-line block ×6, first 2 shown]
	v_fma_f64 v[90:91], v[64:65], s[24:25], v[42:43]
	v_add_f64_e32 v[110:111], v[60:61], v[74:75]
	v_add_f64_e32 v[112:113], v[84:85], v[92:93]
	;; [unrolled: 1-line block ×5, first 2 shown]
	v_add_f64_e64 v[64:65], v[72:73], -v[96:97]
	v_add_f64_e64 v[62:63], v[66:67], -v[70:71]
	v_add_f64_e32 v[42:43], v[48:49], v[82:83]
	v_add_f64_e64 v[46:47], v[82:83], -v[48:49]
	v_add_f64_e32 v[48:49], v[94:95], v[52:53]
	v_add_f64_e64 v[50:51], v[80:81], -v[86:87]
	v_add_f64_e64 v[52:53], v[52:53], -v[94:95]
	v_add_f64_e32 v[54:55], v[86:87], v[80:81]
	v_add_f64_e32 v[66:67], v[70:71], v[66:67]
	;; [unrolled: 1-line block ×3, first 2 shown]
	v_add_f64_e64 v[82:83], v[112:113], -v[90:91]
	v_add_f64_e64 v[68:69], v[76:77], -v[104:105]
	v_add_f64_e32 v[70:71], v[102:103], v[78:79]
	v_add_f64_e32 v[72:73], v[104:105], v[76:77]
	v_add_f64_e64 v[74:75], v[78:79], -v[102:103]
	v_add_f64_e32 v[76:77], v[100:101], v[108:109]
	v_add_f64_e64 v[78:79], v[88:89], -v[98:99]
	v_add_f64_e64 v[84:85], v[108:109], -v[100:101]
	v_add_f64_e32 v[86:87], v[98:99], v[88:89]
	v_add_f64_e64 v[88:89], v[110:111], -v[106:107]
	v_add_f64_e32 v[90:91], v[90:91], v[112:113]
	ds_store_b128 v129, v[36:39]
	ds_store_b128 v129, v[60:63] offset:864
	ds_store_b128 v129, v[48:51] offset:1728
	;; [unrolled: 1-line block ×6, first 2 shown]
	ds_store_b128 v240, v[32:35]
	ds_store_b128 v240, v[80:83] offset:864
	ds_store_b128 v240, v[76:79] offset:1728
	;; [unrolled: 1-line block ×6, first 2 shown]
	s_and_saveexec_b32 s1, s0
	s_cbranch_execz .LBB0_21
; %bb.20:
	s_clause 0x8
	scratch_load_b128 v[78:81], off, off offset:632 th:TH_LOAD_LU
	scratch_load_b128 v[96:99], off, off offset:72 th:TH_LOAD_LU
	scratch_load_b128 v[60:63], off, off offset:552 th:TH_LOAD_LU
	scratch_load_b128 v[74:77], off, off offset:616 th:TH_LOAD_LU
	scratch_load_b128 v[92:95], off, off offset:56 th:TH_LOAD_LU
	scratch_load_b128 v[64:67], off, off offset:568 th:TH_LOAD_LU
	scratch_load_b128 v[88:91], off, off offset:40 th:TH_LOAD_LU
	scratch_load_b128 v[70:73], off, off offset:600 th:TH_LOAD_LU
	scratch_load_b128 v[84:87], off, off offset:24 th:TH_LOAD_LU
	s_wait_loadcnt 0x7
	v_mul_f64_e32 v[32:33], v[80:81], v[96:97]
	v_mul_f64_e32 v[42:43], v[80:81], v[98:99]
	s_wait_loadcnt 0x6
	v_mul_f64_e32 v[34:35], v[62:63], v[28:29]
	s_wait_loadcnt 0x2
	v_mul_f64_e32 v[38:39], v[66:67], v[88:89]
	v_mul_f64_e32 v[44:45], v[66:67], v[90:91]
	s_clause 0x1
	scratch_load_b128 v[66:69], off, off offset:584 th:TH_LOAD_LU
	scratch_load_b128 v[80:83], off, off offset:8 th:TH_LOAD_LU
	v_mul_f64_e32 v[36:37], v[76:77], v[92:93]
	v_mul_f64_e32 v[40:41], v[62:63], v[30:31]
	;; [unrolled: 1-line block ×3, first 2 shown]
	s_wait_loadcnt 0x2
	v_mul_f64_e32 v[48:49], v[72:73], v[86:87]
	v_mul_f64_e32 v[54:55], v[72:73], v[84:85]
	v_fma_f64 v[32:33], v[78:79], v[98:99], -v[32:33]
	v_fma_f64 v[30:31], v[60:61], v[30:31], -v[34:35]
	v_fma_f64 v[34:35], v[74:75], v[94:95], -v[36:37]
	v_fma_f64 v[36:37], v[64:65], v[90:91], -v[38:39]
	v_fma_f64 v[28:29], v[60:61], v[28:29], v[40:41]
	v_fma_f64 v[38:39], v[78:79], v[96:97], v[42:43]
	;; [unrolled: 1-line block ×5, first 2 shown]
	s_delay_alu instid0(VALU_DEP_4) | instskip(SKIP_1) | instid1(VALU_DEP_4)
	v_add_f64_e32 v[60:61], v[28:29], v[38:39]
	v_add_f64_e64 v[38:39], v[28:29], -v[38:39]
	v_add_f64_e32 v[62:63], v[40:41], v[42:43]
	v_add_f64_e64 v[40:41], v[40:41], -v[42:43]
	s_wait_loadcnt 0x0
	v_mul_f64_e32 v[50:51], v[68:69], v[82:83]
	v_mul_f64_e32 v[52:53], v[68:69], v[80:81]
	s_delay_alu instid0(VALU_DEP_2) | instskip(NEXT) | instid1(VALU_DEP_2)
	v_fma_f64 v[46:47], v[66:67], v[80:81], v[50:51]
	v_fma_f64 v[48:49], v[66:67], v[82:83], -v[52:53]
	v_fma_f64 v[50:51], v[70:71], v[86:87], -v[54:55]
	v_add_f64_e32 v[52:53], v[30:31], v[32:33]
	v_add_f64_e32 v[54:55], v[36:37], v[34:35]
	v_add_f64_e64 v[34:35], v[36:37], -v[34:35]
	v_add_f64_e64 v[32:33], v[30:31], -v[32:33]
	v_add_f64_e32 v[30:31], v[62:63], v[60:61]
	v_add_f64_e64 v[66:67], v[40:41], -v[38:39]
	v_add_f64_e64 v[64:65], v[44:45], -v[46:47]
	v_add_f64_e32 v[44:45], v[46:47], v[44:45]
	v_add_f64_e32 v[42:43], v[48:49], v[50:51]
	v_add_f64_e64 v[46:47], v[50:51], -v[48:49]
	v_add_f64_e32 v[28:29], v[54:55], v[52:53]
	v_add_f64_e64 v[70:71], v[34:35], -v[32:33]
	v_add_f64_e64 v[36:37], v[64:65], -v[40:41]
	;; [unrolled: 1-line block ×4, first 2 shown]
	v_add_f64_e32 v[72:73], v[44:45], v[30:31]
	v_add_f64_e32 v[68:69], v[42:43], v[28:29]
	v_add_f64_e64 v[42:43], v[42:43], -v[54:55]
	v_add_f64_e64 v[28:29], v[46:47], -v[34:35]
	;; [unrolled: 1-line block ×4, first 2 shown]
	v_add_f64_e32 v[40:41], v[64:65], v[40:41]
	v_add_f64_e32 v[34:35], v[46:47], v[34:35]
	v_mul_f64_e32 v[64:65], s[2:3], v[66:67]
	v_add_f64_e64 v[46:47], v[32:33], -v[46:47]
	v_add_f64_e64 v[52:53], v[54:55], -v[52:53]
	v_mul_f64_e32 v[76:77], s[2:3], v[70:71]
	v_mul_f64_e32 v[36:37], s[18:19], v[36:37]
	;; [unrolled: 1-line block ×4, first 2 shown]
	v_add_f64_e32 v[30:31], v[58:59], v[68:69]
	v_mul_f64_e32 v[54:55], s[20:21], v[42:43]
	v_mul_f64_e32 v[58:59], s[18:19], v[28:29]
	v_add_f64_e32 v[28:29], v[56:57], v[72:73]
	v_add_f64_e64 v[56:57], v[62:63], -v[60:61]
	v_mul_f64_e32 v[60:61], s[20:21], v[44:45]
	v_add_f64_e32 v[38:39], v[40:41], v[38:39]
	v_add_f64_e32 v[32:33], v[34:35], v[32:33]
	v_fma_f64 v[34:35], v[74:75], s[10:11], v[36:37]
	v_fma_f64 v[36:37], v[66:67], s[2:3], -v[36:37]
	v_fma_f64 v[40:41], v[42:43], s[20:21], v[48:49]
	v_fma_f64 v[42:43], v[44:45], s[20:21], v[50:51]
	v_fma_f64 v[44:45], v[74:75], s[12:13], -v[64:65]
	v_fma_f64 v[62:63], v[68:69], s[26:27], v[30:31]
	v_fma_f64 v[48:49], v[52:53], s[16:17], -v[48:49]
	v_fma_f64 v[52:53], v[52:53], s[14:15], -v[54:55]
	v_fma_f64 v[54:55], v[46:47], s[10:11], v[58:59]
	v_fma_f64 v[46:47], v[46:47], s[12:13], -v[76:77]
	v_fma_f64 v[58:59], v[70:71], s[2:3], -v[58:59]
	v_fma_f64 v[64:65], v[72:73], s[26:27], v[28:29]
	v_fma_f64 v[50:51], v[56:57], s[16:17], -v[50:51]
	v_fma_f64 v[56:57], v[56:57], s[14:15], -v[60:61]
	v_fma_f64 v[60:61], v[38:39], s[24:25], v[34:35]
	v_fma_f64 v[36:37], v[38:39], s[24:25], v[36:37]
	;; [unrolled: 1-line block ×3, first 2 shown]
	v_add_f64_e32 v[40:41], v[40:41], v[62:63]
	v_add_f64_e32 v[48:49], v[48:49], v[62:63]
	;; [unrolled: 1-line block ×3, first 2 shown]
	v_fma_f64 v[62:63], v[32:33], s[24:25], v[54:55]
	v_fma_f64 v[66:67], v[32:33], s[24:25], v[46:47]
	v_fma_f64 v[32:33], v[32:33], s[24:25], v[58:59]
	v_add_f64_e32 v[58:59], v[42:43], v[64:65]
	v_add_f64_e32 v[68:69], v[50:51], v[64:65]
	v_add_f64_e32 v[56:57], v[56:57], v[64:65]
	v_add_f64_e64 v[54:55], v[40:41], -v[60:61]
	v_add_f64_e32 v[38:39], v[44:45], v[48:49]
	v_add_f64_e64 v[42:43], v[52:53], -v[36:37]
	v_add_f64_e32 v[46:47], v[36:37], v[52:53]
	v_add_f64_e64 v[50:51], v[48:49], -v[44:45]
	v_add_f64_e32 v[34:35], v[60:61], v[40:41]
	v_add_f64_e32 v[52:53], v[62:63], v[58:59]
	v_add_f64_e32 v[48:49], v[66:67], v[68:69]
	v_add_f64_e64 v[44:45], v[56:57], -v[32:33]
	v_add_f64_e32 v[40:41], v[32:33], v[56:57]
	v_add_f64_e64 v[36:37], v[68:69], -v[66:67]
	v_add_f64_e64 v[32:33], v[58:59], -v[62:63]
	v_lshlrev_b32_e32 v56, 4, v246
	ds_store_b128 v56, v[28:31] offset:24192
	ds_store_b128 v56, v[52:55] offset:25056
	ds_store_b128 v56, v[48:51] offset:25920
	ds_store_b128 v56, v[44:47] offset:26784
	ds_store_b128 v56, v[40:43] offset:27648
	ds_store_b128 v56, v[36:39] offset:28512
	ds_store_b128 v56, v[32:35] offset:29376
.LBB0_21:
	s_wait_alu 0xfffe
	s_or_b32 exec_lo, exec_lo, s1
	global_wb scope:SCOPE_SE
	s_wait_dscnt 0x0
	s_barrier_signal -1
	s_barrier_wait -1
	global_inv scope:SCOPE_SE
	ds_load_b128 v[28:31], v128 offset:6048
	ds_load_b128 v[32:35], v128 offset:12096
	;; [unrolled: 1-line block ×13, first 2 shown]
	s_mov_b32 s10, 0x134454ff
	s_mov_b32 s11, 0xbfee6f0e
	;; [unrolled: 1-line block ×3, first 2 shown]
	s_wait_alu 0xfffe
	s_mov_b32 s12, s10
	s_mov_b32 s0, 0x4755a5e
	s_mov_b32 s1, 0xbfe2cf23
	s_mov_b32 s3, 0x3fe2cf23
	s_wait_dscnt 0xc
	v_mul_f64_e32 v[80:81], v[222:223], v[30:31]
	v_mul_f64_e32 v[82:83], v[222:223], v[28:29]
	s_wait_dscnt 0xb
	v_mul_f64_e32 v[84:85], v[218:219], v[34:35]
	v_mul_f64_e32 v[86:87], v[218:219], v[32:33]
	s_wait_dscnt 0xa
	v_mul_f64_e32 v[88:89], v[238:239], v[38:39]
	v_mul_f64_e32 v[90:91], v[238:239], v[36:37]
	s_wait_dscnt 0x9
	v_mul_f64_e32 v[92:93], v[250:251], v[42:43]
	v_mul_f64_e32 v[94:95], v[250:251], v[40:41]
	s_wait_dscnt 0x8
	v_mul_f64_e32 v[96:97], v[254:255], v[46:47]
	v_mul_f64_e32 v[98:99], v[254:255], v[44:45]
	s_wait_dscnt 0x7
	v_mul_f64_e32 v[100:101], v[2:3], v[50:51]
	s_wait_dscnt 0x6
	v_mul_f64_e32 v[102:103], v[10:11], v[54:55]
	v_mul_f64_e32 v[10:11], v[10:11], v[52:53]
	s_wait_dscnt 0x5
	v_mul_f64_e32 v[104:105], v[6:7], v[58:59]
	;; [unrolled: 3-line block ×6, first 2 shown]
	v_mul_f64_e32 v[2:3], v[2:3], v[48:49]
	v_mul_f64_e32 v[22:23], v[22:23], v[76:77]
	s_wait_alu 0xfffe
	s_mov_b32 s2, s0
	v_fma_f64 v[28:29], v[220:221], v[28:29], v[80:81]
	v_fma_f64 v[30:31], v[220:221], v[30:31], -v[82:83]
	v_fma_f64 v[32:33], v[216:217], v[32:33], v[84:85]
	v_fma_f64 v[34:35], v[216:217], v[34:35], -v[86:87]
	;; [unrolled: 2-line block ×5, first 2 shown]
	v_fma_f64 v[48:49], v[0:1], v[48:49], v[100:101]
	v_fma_f64 v[52:53], v[8:9], v[52:53], v[102:103]
	v_fma_f64 v[8:9], v[8:9], v[54:55], -v[10:11]
	v_fma_f64 v[10:11], v[4:5], v[56:57], v[104:105]
	v_fma_f64 v[54:55], v[4:5], v[58:59], -v[6:7]
	;; [unrolled: 2-line block ×6, first 2 shown]
	v_fma_f64 v[20:21], v[20:21], v[78:79], -v[22:23]
	ds_load_b128 v[0:3], v128
	ds_load_b128 v[4:7], v128 offset:2016
	v_add_f64_e64 v[74:75], v[28:29], -v[32:33]
	v_add_f64_e64 v[82:83], v[32:33], -v[28:29]
	v_add_f64_e32 v[22:23], v[32:33], v[36:37]
	v_add_f64_e32 v[68:69], v[34:35], v[38:39]
	;; [unrolled: 1-line block ×4, first 2 shown]
	s_wait_dscnt 0x1
	v_add_f64_e32 v[58:59], v[0:1], v[28:29]
	v_add_f64_e64 v[70:71], v[34:35], -v[38:39]
	v_add_f64_e64 v[78:79], v[40:41], -v[36:37]
	v_add_f64_e32 v[76:77], v[48:49], v[52:53]
	v_add_f64_e64 v[88:89], v[36:37], -v[40:41]
	v_add_f64_e32 v[80:81], v[44:45], v[10:11]
	v_add_f64_e32 v[84:85], v[46:47], v[54:55]
	;; [unrolled: 1-line block ×3, first 2 shown]
	v_add_f64_e64 v[100:101], v[32:33], -v[36:37]
	v_add_f64_e64 v[102:103], v[30:31], -v[34:35]
	;; [unrolled: 1-line block ×3, first 2 shown]
	v_add_f64_e32 v[92:93], v[18:19], v[14:15]
	v_add_f64_e32 v[94:95], v[12:13], v[24:25]
	;; [unrolled: 1-line block ×5, first 2 shown]
	s_wait_dscnt 0x0
	v_add_f64_e32 v[108:109], v[4:5], v[44:45]
	v_add_f64_e64 v[110:111], v[46:47], -v[54:55]
	v_add_f64_e32 v[122:123], v[6:7], v[46:47]
	v_add_f64_e64 v[124:125], v[48:49], -v[52:53]
	v_add_f64_e32 v[126:127], v[60:61], v[56:57]
	v_add_f64_e32 v[129:130], v[62:63], v[16:17]
	v_add_f64_e64 v[133:134], v[16:17], -v[20:21]
	v_add_f64_e64 v[66:67], v[30:31], -v[42:43]
	;; [unrolled: 1-line block ×12, first 2 shown]
	v_fma_f64 v[22:23], v[22:23], -0.5, v[0:1]
	v_fma_f64 v[68:69], v[68:69], -0.5, v[2:3]
	;; [unrolled: 1-line block ×4, first 2 shown]
	v_add_f64_e64 v[131:132], v[46:47], -v[50:51]
	v_add_f64_e64 v[46:47], v[50:51], -v[46:47]
	;; [unrolled: 1-line block ×3, first 2 shown]
	v_fma_f64 v[76:77], v[76:77], -0.5, v[4:5]
	v_add_f64_e64 v[139:140], v[16:17], -v[12:13]
	v_fma_f64 v[4:5], v[80:81], -0.5, v[4:5]
	v_add_f64_e64 v[80:81], v[12:13], -v[24:25]
	;; [unrolled: 2-line block ×3, first 2 shown]
	v_add_f64_e64 v[143:144], v[24:25], -v[20:21]
	v_add_f64_e32 v[32:33], v[58:59], v[32:33]
	v_fma_f64 v[92:93], v[92:93], -0.5, v[60:61]
	v_fma_f64 v[94:95], v[94:95], -0.5, v[62:63]
	;; [unrolled: 1-line block ×5, first 2 shown]
	v_add_f64_e64 v[86:87], v[56:57], -v[18:19]
	v_add_f64_e64 v[96:97], v[26:27], -v[14:15]
	v_add_f64_e64 v[56:57], v[18:19], -v[56:57]
	v_add_f64_e64 v[98:99], v[14:15], -v[26:27]
	v_add_f64_e32 v[58:59], v[74:75], v[78:79]
	v_add_f64_e32 v[74:75], v[82:83], v[88:89]
	;; [unrolled: 1-line block ×9, first 2 shown]
	v_add_f64_e64 v[120:121], v[52:53], -v[10:11]
	v_add_f64_e64 v[64:65], v[54:55], -v[8:9]
	;; [unrolled: 1-line block ×3, first 2 shown]
	v_add_f64_e32 v[114:115], v[114:115], v[116:117]
	v_fma_f64 v[82:83], v[66:67], s[10:11], v[22:23]
	v_fma_f64 v[90:91], v[28:29], s[12:13], v[68:69]
	;; [unrolled: 1-line block ×13, first 2 shown]
	v_add_f64_e32 v[46:47], v[46:47], v[72:73]
	v_fma_f64 v[4:5], v[112:113], s[10:11], v[4:5]
	v_fma_f64 v[126:127], v[133:134], s[10:11], v[92:93]
	;; [unrolled: 1-line block ×11, first 2 shown]
	v_add_f64_e32 v[72:73], v[86:87], v[96:97]
	v_add_f64_e32 v[56:57], v[56:57], v[98:99]
	v_add_f64_e32 v[96:97], v[16:17], v[143:144]
	v_add_f64_e32 v[16:17], v[32:33], v[36:37]
	v_add_f64_e32 v[32:33], v[34:35], v[38:39]
	v_add_f64_e32 v[34:35], v[48:49], v[52:53]
	v_add_f64_e32 v[8:9], v[50:51], v[8:9]
	v_add_f64_e32 v[14:15], v[18:19], v[14:15]
	v_add_f64_e32 v[12:13], v[12:13], v[24:25]
	v_add_f64_e32 v[116:117], v[118:119], v[120:121]
	v_add_f64_e32 v[64:65], v[131:132], v[64:65]
	v_add_f64_e32 v[86:87], v[139:140], v[141:142]
	v_fma_f64 v[18:19], v[70:71], s[0:1], v[82:83]
	s_wait_alu 0xfffe
	v_fma_f64 v[38:39], v[100:101], s[2:3], v[90:91]
	v_fma_f64 v[24:25], v[66:67], s[0:1], v[88:89]
	;; [unrolled: 1-line block ×23, first 2 shown]
	s_mov_b32 s0, 0x372fe950
	s_mov_b32 s1, 0x3fd3c6ef
	;; [unrolled: 1-line block ×3, first 2 shown]
	v_add_f64_e32 v[0:1], v[16:17], v[40:41]
	v_add_f64_e32 v[2:3], v[32:33], v[42:43]
	;; [unrolled: 1-line block ×6, first 2 shown]
	s_mov_b32 s3, 0x3f41566a
	s_wait_alu 0xfffe
	v_fma_f64 v[12:13], v[58:59], s[0:1], v[18:19]
	v_fma_f64 v[14:15], v[78:79], s[0:1], v[38:39]
	;; [unrolled: 1-line block ×18, first 2 shown]
	scratch_load_b64 v[60:61], off, off offset:268 th:TH_LOAD_LU ; 8-byte Folded Reload
	v_fma_f64 v[34:35], v[64:65], s[0:1], v[88:89]
	v_fma_f64 v[30:31], v[64:65], s[0:1], v[82:83]
	;; [unrolled: 1-line block ×6, first 2 shown]
	v_mad_co_u64_u32 v[62:63], null, s4, v245, 0
	s_movk_i32 s0, 0xfccd
	s_mov_b32 s1, -1
	ds_store_b128 v128, v[0:3]
	ds_store_b128 v128, v[4:7] offset:2016
	ds_store_b128 v128, v[20:23] offset:12096
	ds_store_b128 v128, v[36:39] offset:14112
	ds_store_b128 v128, v[16:19] offset:24192
	ds_store_b128 v128, v[32:35] offset:26208
	ds_store_b128 v128, v[12:15] offset:6048
	ds_store_b128 v128, v[8:11] offset:4032
	ds_store_b128 v128, v[28:31] offset:8064
	ds_store_b128 v128, v[44:47] offset:10080
	ds_store_b128 v128, v[24:27] offset:18144
	ds_store_b128 v128, v[52:55] offset:16128
	ds_store_b128 v128, v[40:43] offset:20160
	ds_store_b128 v128, v[56:59] offset:22176
	ds_store_b128 v128, v[48:51] offset:28224
	global_wb scope:SCOPE_SE
	s_wait_loadcnt_dscnt 0x0
	s_barrier_signal -1
	s_barrier_wait -1
	global_inv scope:SCOPE_SE
	ds_load_b128 v[0:3], v128
	ds_load_b128 v[4:7], v128 offset:15120
	ds_load_b128 v[8:11], v128 offset:2016
	s_wait_alu 0xfffe
	s_mul_u64 s[0:1], s[4:5], s[0:1]
	v_mov_b32_e32 v64, v60
	s_delay_alu instid0(VALU_DEP_1) | instskip(NEXT) | instid1(VALU_DEP_1)
	v_mad_co_u64_u32 v[60:61], null, s6, v64, 0
	v_mad_co_u64_u32 v[12:13], null, s7, v64, v[61:62]
	s_mul_u64 s[6:7], s[4:5], 0x3b1
	s_delay_alu instid0(VALU_DEP_1)
	v_mov_b32_e32 v61, v12
	v_mad_co_u64_u32 v[16:17], null, s5, v245, v[63:64]
	ds_load_b128 v[12:15], v128 offset:17136
	s_wait_alu 0xfffe
	s_lshl_b64 s[4:5], s[6:7], 4
	v_lshlrev_b64_e32 v[56:57], 4, v[60:61]
	s_lshl_b64 s[6:7], s[0:1], 4
	v_mov_b32_e32 v63, v16
	ds_load_b128 v[16:19], v128 offset:4032
	ds_load_b128 v[20:23], v128 offset:19152
	;; [unrolled: 1-line block ×4, first 2 shown]
	s_clause 0x1
	scratch_load_b128 v[120:123], off, off offset:104 th:TH_LOAD_LU
	scratch_load_b128 v[116:119], off, off offset:88 th:TH_LOAD_LU
	ds_load_b128 v[32:35], v128 offset:21168
	ds_load_b128 v[36:39], v128 offset:8064
	v_add_co_u32 v114, s0, s8, v56
	s_wait_alu 0xf1ff
	v_add_co_ci_u32_e64 v115, s0, s9, v57, s0
	v_lshlrev_b64_e32 v[62:63], 4, v[62:63]
	s_wait_loadcnt_dscnt 0x109
	v_mul_f64_e32 v[58:59], v[122:123], v[2:3]
	v_mul_f64_e32 v[60:61], v[122:123], v[0:1]
	scratch_load_b128 v[122:125], off, off offset:120 th:TH_LOAD_LU ; 16-byte Folded Reload
	ds_load_b128 v[40:43], v128 offset:23184
	ds_load_b128 v[44:47], v128 offset:10080
	s_wait_loadcnt_dscnt 0x10a
	v_mul_f64_e32 v[64:65], v[118:119], v[6:7]
	v_mul_f64_e32 v[66:67], v[118:119], v[4:5]
	v_fma_f64 v[0:1], v[120:121], v[0:1], v[58:59]
	v_fma_f64 v[2:3], v[120:121], v[2:3], -v[60:61]
	v_add_co_u32 v58, s0, v114, v62
	v_fma_f64 v[4:5], v[116:117], v[4:5], v[64:65]
	v_fma_f64 v[6:7], v[116:117], v[6:7], -v[66:67]
	s_wait_alu 0xf1ff
	v_add_co_ci_u32_e64 v59, s0, v115, v63, s0
	s_wait_alu 0xfffe
	v_add_co_u32 v60, s0, v58, s4
	s_wait_alu 0xf1ff
	s_delay_alu instid0(VALU_DEP_2) | instskip(NEXT) | instid1(VALU_DEP_2)
	v_add_co_ci_u32_e64 v61, s0, s5, v59, s0
	v_add_co_u32 v62, s0, v60, s6
	s_wait_alu 0xf1ff
	s_delay_alu instid0(VALU_DEP_2) | instskip(NEXT) | instid1(VALU_DEP_2)
	v_add_co_ci_u32_e64 v63, s0, s7, v61, s0
	v_add_co_u32 v66, s0, v62, s4
	s_wait_alu 0xf1ff
	s_delay_alu instid0(VALU_DEP_2)
	v_add_co_ci_u32_e64 v67, s0, s5, v63, s0
	v_mul_f64_e32 v[0:1], s[2:3], v[0:1]
	v_mul_f64_e32 v[2:3], s[2:3], v[2:3]
	;; [unrolled: 1-line block ×4, first 2 shown]
	s_wait_loadcnt_dscnt 0x9
	v_mul_f64_e32 v[68:69], v[124:125], v[10:11]
	v_mul_f64_e32 v[70:71], v[124:125], v[8:9]
	scratch_load_b128 v[124:127], off, off offset:136 th:TH_LOAD_LU ; 16-byte Folded Reload
	ds_load_b128 v[48:51], v128 offset:25200
	ds_load_b128 v[52:55], v128 offset:27216
	s_clause 0x2
	scratch_load_b128 v[133:136], off, off offset:168 th:TH_LOAD_LU
	scratch_load_b128 v[129:132], off, off offset:152 th:TH_LOAD_LU
	scratch_load_b128 v[143:146], off, off offset:232 th:TH_LOAD_LU
	v_fma_f64 v[8:9], v[122:123], v[8:9], v[68:69]
	v_fma_f64 v[10:11], v[122:123], v[10:11], -v[70:71]
	v_add_co_u32 v68, s0, v66, s6
	s_wait_alu 0xf1ff
	v_add_co_ci_u32_e64 v69, s0, s7, v67, s0
	s_delay_alu instid0(VALU_DEP_2) | instskip(SKIP_1) | instid1(VALU_DEP_2)
	v_add_co_u32 v70, s0, v68, s4
	s_wait_alu 0xf1ff
	v_add_co_ci_u32_e64 v71, s0, s5, v69, s0
	v_mul_f64_e32 v[8:9], s[2:3], v[8:9]
	v_mul_f64_e32 v[10:11], s[2:3], v[10:11]
	s_wait_loadcnt_dscnt 0x30a
	v_mul_f64_e32 v[72:73], v[126:127], v[14:15]
	v_mul_f64_e32 v[74:75], v[126:127], v[12:13]
	s_wait_loadcnt_dscnt 0x209
	v_mul_f64_e32 v[76:77], v[135:136], v[18:19]
	v_mul_f64_e32 v[78:79], v[135:136], v[16:17]
	scratch_load_b128 v[135:138], off, off offset:184 th:TH_LOAD_LU ; 16-byte Folded Reload
	s_wait_loadcnt_dscnt 0x208
	v_mul_f64_e32 v[56:57], v[131:132], v[22:23]
	v_mul_f64_e32 v[80:81], v[131:132], v[20:21]
	s_wait_loadcnt_dscnt 0x104
	v_mul_f64_e32 v[90:91], v[145:146], v[38:39]
	v_mul_f64_e32 v[92:93], v[145:146], v[36:37]
	scratch_load_b128 v[145:148], off, off offset:252 th:TH_LOAD_LU ; 16-byte Folded Reload
	v_fma_f64 v[12:13], v[124:125], v[12:13], v[72:73]
	v_fma_f64 v[14:15], v[124:125], v[14:15], -v[74:75]
	v_fma_f64 v[16:17], v[133:134], v[16:17], v[76:77]
	v_fma_f64 v[18:19], v[133:134], v[18:19], -v[78:79]
	v_add_co_u32 v72, s0, v70, s6
	v_fma_f64 v[20:21], v[129:130], v[20:21], v[56:57]
	v_fma_f64 v[22:23], v[129:130], v[22:23], -v[80:81]
	s_wait_alu 0xf1ff
	v_add_co_ci_u32_e64 v73, s0, s7, v71, s0
	v_fma_f64 v[36:37], v[143:144], v[36:37], v[90:91]
	v_fma_f64 v[38:39], v[143:144], v[38:39], -v[92:93]
	v_mul_f64_e32 v[12:13], s[2:3], v[12:13]
	v_mul_f64_e32 v[14:15], s[2:3], v[14:15]
	;; [unrolled: 1-line block ×6, first 2 shown]
	s_wait_loadcnt 0x1
	v_mul_f64_e32 v[82:83], v[137:138], v[26:27]
	v_mul_f64_e32 v[84:85], v[137:138], v[24:25]
	scratch_load_b128 v[137:140], off, off offset:200 th:TH_LOAD_LU ; 16-byte Folded Reload
	s_wait_loadcnt_dscnt 0x102
	v_mul_f64_e32 v[98:99], v[147:148], v[46:47]
	v_mul_f64_e32 v[100:101], v[147:148], v[44:45]
	scratch_load_b128 v[147:150], off, off offset:276 th:TH_LOAD_LU ; 16-byte Folded Reload
	v_fma_f64 v[24:25], v[135:136], v[24:25], v[82:83]
	v_fma_f64 v[26:27], v[135:136], v[26:27], -v[84:85]
	v_fma_f64 v[44:45], v[145:146], v[44:45], v[98:99]
	v_fma_f64 v[46:47], v[145:146], v[46:47], -v[100:101]
	s_delay_alu instid0(VALU_DEP_4) | instskip(NEXT) | instid1(VALU_DEP_4)
	v_mul_f64_e32 v[24:25], s[2:3], v[24:25]
	v_mul_f64_e32 v[26:27], s[2:3], v[26:27]
	s_wait_loadcnt 0x1
	v_mul_f64_e32 v[86:87], v[139:140], v[34:35]
	v_mul_f64_e32 v[88:89], v[139:140], v[32:33]
	scratch_load_b128 v[139:142], off, off offset:216 th:TH_LOAD_LU ; 16-byte Folded Reload
	s_wait_loadcnt_dscnt 0x101
	v_mul_f64_e32 v[102:103], v[149:150], v[50:51]
	v_mul_f64_e32 v[104:105], v[149:150], v[48:49]
	scratch_load_b128 v[149:152], off, off offset:292 th:TH_LOAD_LU ; 16-byte Folded Reload
	v_fma_f64 v[32:33], v[137:138], v[32:33], v[86:87]
	v_fma_f64 v[34:35], v[137:138], v[34:35], -v[88:89]
	v_fma_f64 v[48:49], v[147:148], v[48:49], v[102:103]
	v_fma_f64 v[50:51], v[147:148], v[50:51], -v[104:105]
	s_wait_loadcnt 0x1
	v_mul_f64_e32 v[94:95], v[141:142], v[42:43]
	v_mul_f64_e32 v[96:97], v[141:142], v[40:41]
	s_wait_loadcnt 0x0
	v_mul_f64_e32 v[106:107], v[151:152], v[30:31]
	v_mul_f64_e32 v[108:109], v[151:152], v[28:29]
	scratch_load_b128 v[151:154], off, off offset:308 th:TH_LOAD_LU ; 16-byte Folded Reload
	s_clause 0x2
	global_store_b128 v[58:59], v[0:3], off
	global_store_b128 v[60:61], v[4:7], off
	;; [unrolled: 1-line block ×3, first 2 shown]
	v_add_co_u32 v0, s0, v72, s4
	s_clause 0x1
	global_store_b128 v[66:67], v[12:15], off
	global_store_b128 v[68:69], v[16:19], off
	;; [unrolled: 1-line block ×4, first 2 shown]
	s_wait_alu 0xf1ff
	v_add_co_ci_u32_e64 v1, s0, s5, v73, s0
	v_add_co_u32 v2, s0, v0, s6
	s_wait_alu 0xf1ff
	s_delay_alu instid0(VALU_DEP_2) | instskip(NEXT) | instid1(VALU_DEP_2)
	v_add_co_ci_u32_e64 v3, s0, s7, v1, s0
	v_add_co_u32 v4, s0, v2, s4
	s_wait_alu 0xf1ff
	s_delay_alu instid0(VALU_DEP_2) | instskip(NEXT) | instid1(VALU_DEP_2)
	;; [unrolled: 4-line block ×4, first 2 shown]
	v_add_co_ci_u32_e64 v9, s0, s5, v7, s0
	v_add_co_u32 v10, s0, v8, s6
	v_fma_f64 v[40:41], v[139:140], v[40:41], v[94:95]
	v_fma_f64 v[42:43], v[139:140], v[42:43], -v[96:97]
	s_wait_alu 0xf1ff
	v_add_co_ci_u32_e64 v11, s0, s7, v9, s0
	v_fma_f64 v[56:57], v[149:150], v[28:29], v[106:107]
	v_fma_f64 v[64:65], v[149:150], v[30:31], -v[108:109]
	v_mul_f64_e32 v[28:29], s[2:3], v[32:33]
	v_mul_f64_e32 v[30:31], s[2:3], v[34:35]
	;; [unrolled: 1-line block ×12, first 2 shown]
	global_store_b128 v[0:1], v[28:31], off
	v_add_co_u32 v0, s0, v10, s4
	global_store_b128 v[2:3], v[32:35], off
	s_wait_alu 0xf1ff
	v_add_co_ci_u32_e64 v1, s0, s5, v11, s0
	s_wait_loadcnt_dscnt 0x0
	v_mul_f64_e32 v[110:111], v[153:154], v[54:55]
	v_mul_f64_e32 v[112:113], v[153:154], v[52:53]
	s_delay_alu instid0(VALU_DEP_2) | instskip(NEXT) | instid1(VALU_DEP_2)
	v_fma_f64 v[52:53], v[151:152], v[52:53], v[110:111]
	v_fma_f64 v[54:55], v[151:152], v[54:55], -v[112:113]
	s_delay_alu instid0(VALU_DEP_2) | instskip(NEXT) | instid1(VALU_DEP_2)
	v_mul_f64_e32 v[52:53], s[2:3], v[52:53]
	v_mul_f64_e32 v[54:55], s[2:3], v[54:55]
	global_store_b128 v[4:5], v[36:39], off
	global_store_b128 v[6:7], v[40:43], off
	;; [unrolled: 1-line block ×5, first 2 shown]
	s_and_b32 exec_lo, exec_lo, vcc_lo
	s_cbranch_execz .LBB0_23
; %bb.22:
	scratch_load_b64 v[16:17], off, off th:TH_LOAD_LU ; 8-byte Folded Reload
	s_wait_loadcnt 0x0
	global_load_b128 v[2:5], v[16:17], off offset:14112
	ds_load_b128 v[6:9], v128 offset:14112
	ds_load_b128 v[10:13], v128 offset:29232
	s_wait_loadcnt_dscnt 0x1
	v_mul_f64_e32 v[14:15], v[8:9], v[4:5]
	v_mul_f64_e32 v[4:5], v[6:7], v[4:5]
	s_delay_alu instid0(VALU_DEP_2) | instskip(NEXT) | instid1(VALU_DEP_2)
	v_fma_f64 v[6:7], v[6:7], v[2:3], v[14:15]
	v_fma_f64 v[4:5], v[2:3], v[8:9], -v[4:5]
	s_delay_alu instid0(VALU_DEP_2) | instskip(NEXT) | instid1(VALU_DEP_2)
	v_mul_f64_e32 v[2:3], s[2:3], v[6:7]
	v_mul_f64_e32 v[4:5], s[2:3], v[4:5]
	v_add_co_u32 v6, vcc_lo, v0, s6
	s_wait_alu 0xfffd
	v_add_co_ci_u32_e32 v7, vcc_lo, s7, v1, vcc_lo
	global_store_b128 v[6:7], v[2:5], off
	global_load_b128 v[0:3], v[16:17], off offset:29232
	s_wait_loadcnt_dscnt 0x0
	v_mul_f64_e32 v[4:5], v[12:13], v[2:3]
	v_mul_f64_e32 v[2:3], v[10:11], v[2:3]
	s_delay_alu instid0(VALU_DEP_2) | instskip(NEXT) | instid1(VALU_DEP_2)
	v_fma_f64 v[4:5], v[10:11], v[0:1], v[4:5]
	v_fma_f64 v[2:3], v[0:1], v[12:13], -v[2:3]
	s_delay_alu instid0(VALU_DEP_2) | instskip(NEXT) | instid1(VALU_DEP_2)
	v_mul_f64_e32 v[0:1], s[2:3], v[4:5]
	v_mul_f64_e32 v[2:3], s[2:3], v[2:3]
	v_add_co_u32 v4, vcc_lo, v6, s4
	s_wait_alu 0xfffd
	v_add_co_ci_u32_e32 v5, vcc_lo, s5, v7, vcc_lo
	global_store_b128 v[4:5], v[0:3], off
.LBB0_23:
	s_nop 0
	s_sendmsg sendmsg(MSG_DEALLOC_VGPRS)
	s_endpgm
	.section	.rodata,"a",@progbits
	.p2align	6, 0x0
	.amdhsa_kernel bluestein_single_back_len1890_dim1_dp_op_CI_CI
		.amdhsa_group_segment_fixed_size 30240
		.amdhsa_private_segment_fixed_size 652
		.amdhsa_kernarg_size 104
		.amdhsa_user_sgpr_count 2
		.amdhsa_user_sgpr_dispatch_ptr 0
		.amdhsa_user_sgpr_queue_ptr 0
		.amdhsa_user_sgpr_kernarg_segment_ptr 1
		.amdhsa_user_sgpr_dispatch_id 0
		.amdhsa_user_sgpr_private_segment_size 0
		.amdhsa_wavefront_size32 1
		.amdhsa_uses_dynamic_stack 0
		.amdhsa_enable_private_segment 1
		.amdhsa_system_sgpr_workgroup_id_x 1
		.amdhsa_system_sgpr_workgroup_id_y 0
		.amdhsa_system_sgpr_workgroup_id_z 0
		.amdhsa_system_sgpr_workgroup_info 0
		.amdhsa_system_vgpr_workitem_id 0
		.amdhsa_next_free_vgpr 256
		.amdhsa_next_free_sgpr 32
		.amdhsa_reserve_vcc 1
		.amdhsa_float_round_mode_32 0
		.amdhsa_float_round_mode_16_64 0
		.amdhsa_float_denorm_mode_32 3
		.amdhsa_float_denorm_mode_16_64 3
		.amdhsa_fp16_overflow 0
		.amdhsa_workgroup_processor_mode 1
		.amdhsa_memory_ordered 1
		.amdhsa_forward_progress 0
		.amdhsa_round_robin_scheduling 0
		.amdhsa_exception_fp_ieee_invalid_op 0
		.amdhsa_exception_fp_denorm_src 0
		.amdhsa_exception_fp_ieee_div_zero 0
		.amdhsa_exception_fp_ieee_overflow 0
		.amdhsa_exception_fp_ieee_underflow 0
		.amdhsa_exception_fp_ieee_inexact 0
		.amdhsa_exception_int_div_zero 0
	.end_amdhsa_kernel
	.text
.Lfunc_end0:
	.size	bluestein_single_back_len1890_dim1_dp_op_CI_CI, .Lfunc_end0-bluestein_single_back_len1890_dim1_dp_op_CI_CI
                                        ; -- End function
	.section	.AMDGPU.csdata,"",@progbits
; Kernel info:
; codeLenInByte = 25284
; NumSgprs: 34
; NumVgprs: 256
; ScratchSize: 652
; MemoryBound: 0
; FloatMode: 240
; IeeeMode: 1
; LDSByteSize: 30240 bytes/workgroup (compile time only)
; SGPRBlocks: 4
; VGPRBlocks: 31
; NumSGPRsForWavesPerEU: 34
; NumVGPRsForWavesPerEU: 256
; Occupancy: 4
; WaveLimiterHint : 1
; COMPUTE_PGM_RSRC2:SCRATCH_EN: 1
; COMPUTE_PGM_RSRC2:USER_SGPR: 2
; COMPUTE_PGM_RSRC2:TRAP_HANDLER: 0
; COMPUTE_PGM_RSRC2:TGID_X_EN: 1
; COMPUTE_PGM_RSRC2:TGID_Y_EN: 0
; COMPUTE_PGM_RSRC2:TGID_Z_EN: 0
; COMPUTE_PGM_RSRC2:TIDIG_COMP_CNT: 0
	.text
	.p2alignl 7, 3214868480
	.fill 96, 4, 3214868480
	.type	__hip_cuid_84c7c9a159c033f0,@object ; @__hip_cuid_84c7c9a159c033f0
	.section	.bss,"aw",@nobits
	.globl	__hip_cuid_84c7c9a159c033f0
__hip_cuid_84c7c9a159c033f0:
	.byte	0                               ; 0x0
	.size	__hip_cuid_84c7c9a159c033f0, 1

	.ident	"AMD clang version 19.0.0git (https://github.com/RadeonOpenCompute/llvm-project roc-6.4.0 25133 c7fe45cf4b819c5991fe208aaa96edf142730f1d)"
	.section	".note.GNU-stack","",@progbits
	.addrsig
	.addrsig_sym __hip_cuid_84c7c9a159c033f0
	.amdgpu_metadata
---
amdhsa.kernels:
  - .args:
      - .actual_access:  read_only
        .address_space:  global
        .offset:         0
        .size:           8
        .value_kind:     global_buffer
      - .actual_access:  read_only
        .address_space:  global
        .offset:         8
        .size:           8
        .value_kind:     global_buffer
      - .actual_access:  read_only
        .address_space:  global
        .offset:         16
        .size:           8
        .value_kind:     global_buffer
      - .actual_access:  read_only
        .address_space:  global
        .offset:         24
        .size:           8
        .value_kind:     global_buffer
      - .actual_access:  read_only
        .address_space:  global
        .offset:         32
        .size:           8
        .value_kind:     global_buffer
      - .offset:         40
        .size:           8
        .value_kind:     by_value
      - .address_space:  global
        .offset:         48
        .size:           8
        .value_kind:     global_buffer
      - .address_space:  global
        .offset:         56
        .size:           8
        .value_kind:     global_buffer
      - .address_space:  global
        .offset:         64
        .size:           8
        .value_kind:     global_buffer
      - .address_space:  global
        .offset:         72
        .size:           8
        .value_kind:     global_buffer
      - .offset:         80
        .size:           4
        .value_kind:     by_value
      - .address_space:  global
        .offset:         88
        .size:           8
        .value_kind:     global_buffer
      - .address_space:  global
        .offset:         96
        .size:           8
        .value_kind:     global_buffer
    .group_segment_fixed_size: 30240
    .kernarg_segment_align: 8
    .kernarg_segment_size: 104
    .language:       OpenCL C
    .language_version:
      - 2
      - 0
    .max_flat_workgroup_size: 126
    .name:           bluestein_single_back_len1890_dim1_dp_op_CI_CI
    .private_segment_fixed_size: 652
    .sgpr_count:     34
    .sgpr_spill_count: 0
    .symbol:         bluestein_single_back_len1890_dim1_dp_op_CI_CI.kd
    .uniform_work_group_size: 1
    .uses_dynamic_stack: false
    .vgpr_count:     256
    .vgpr_spill_count: 182
    .wavefront_size: 32
    .workgroup_processor_mode: 1
amdhsa.target:   amdgcn-amd-amdhsa--gfx1201
amdhsa.version:
  - 1
  - 2
...

	.end_amdgpu_metadata
